;; amdgpu-corpus repo=ROCm/rocFFT kind=compiled arch=gfx950 opt=O3
	.text
	.amdgcn_target "amdgcn-amd-amdhsa--gfx950"
	.amdhsa_code_object_version 6
	.protected	fft_rtc_fwd_len1400_factors_2_2_2_5_7_5_wgs_56_tpt_56_halfLds_dp_op_CI_CI_unitstride_sbrr_dirReg ; -- Begin function fft_rtc_fwd_len1400_factors_2_2_2_5_7_5_wgs_56_tpt_56_halfLds_dp_op_CI_CI_unitstride_sbrr_dirReg
	.globl	fft_rtc_fwd_len1400_factors_2_2_2_5_7_5_wgs_56_tpt_56_halfLds_dp_op_CI_CI_unitstride_sbrr_dirReg
	.p2align	8
	.type	fft_rtc_fwd_len1400_factors_2_2_2_5_7_5_wgs_56_tpt_56_halfLds_dp_op_CI_CI_unitstride_sbrr_dirReg,@function
fft_rtc_fwd_len1400_factors_2_2_2_5_7_5_wgs_56_tpt_56_halfLds_dp_op_CI_CI_unitstride_sbrr_dirReg: ; @fft_rtc_fwd_len1400_factors_2_2_2_5_7_5_wgs_56_tpt_56_halfLds_dp_op_CI_CI_unitstride_sbrr_dirReg
; %bb.0:
	s_load_dwordx4 s[4:7], s[0:1], 0x58
	s_load_dwordx4 s[8:11], s[0:1], 0x0
	;; [unrolled: 1-line block ×3, first 2 shown]
	v_mul_u32_u24_e32 v1, 0x493, v0
	v_add_u32_sdwa v6, s2, v1 dst_sel:DWORD dst_unused:UNUSED_PAD src0_sel:DWORD src1_sel:WORD_1
	v_mov_b32_e32 v2, 0
	s_waitcnt lgkmcnt(0)
	v_cmp_lt_u64_e64 s[2:3], s[10:11], 2
	v_mov_b32_e32 v7, v2
	s_and_b64 vcc, exec, s[2:3]
	v_mov_b64_e32 v[4:5], 0
	s_cbranch_vccnz .LBB0_8
; %bb.1:
	s_load_dwordx2 s[2:3], s[0:1], 0x10
	s_add_u32 s16, s14, 8
	s_addc_u32 s17, s15, 0
	s_add_u32 s18, s12, 8
	s_addc_u32 s19, s13, 0
	s_waitcnt lgkmcnt(0)
	s_add_u32 s20, s2, 8
	v_mov_b64_e32 v[4:5], 0
	s_addc_u32 s21, s3, 0
	s_mov_b64 s[22:23], 1
	v_mov_b64_e32 v[148:149], v[4:5]
.LBB0_2:                                ; =>This Inner Loop Header: Depth=1
	s_load_dwordx2 s[24:25], s[20:21], 0x0
                                        ; implicit-def: $vgpr150_vgpr151
	s_waitcnt lgkmcnt(0)
	v_or_b32_e32 v3, s25, v7
	v_cmp_ne_u64_e32 vcc, 0, v[2:3]
	s_and_saveexec_b64 s[2:3], vcc
	s_xor_b64 s[26:27], exec, s[2:3]
	s_cbranch_execz .LBB0_4
; %bb.3:                                ;   in Loop: Header=BB0_2 Depth=1
	v_cvt_f32_u32_e32 v1, s24
	v_cvt_f32_u32_e32 v3, s25
	s_sub_u32 s2, 0, s24
	s_subb_u32 s3, 0, s25
	v_fmac_f32_e32 v1, 0x4f800000, v3
	v_rcp_f32_e32 v1, v1
	s_nop 0
	v_mul_f32_e32 v1, 0x5f7ffffc, v1
	v_mul_f32_e32 v3, 0x2f800000, v1
	v_trunc_f32_e32 v3, v3
	v_fmac_f32_e32 v1, 0xcf800000, v3
	v_cvt_u32_f32_e32 v3, v3
	v_cvt_u32_f32_e32 v1, v1
	v_mul_lo_u32 v8, s2, v3
	v_mul_hi_u32 v10, s2, v1
	v_mul_lo_u32 v9, s3, v1
	v_add_u32_e32 v10, v10, v8
	v_mul_lo_u32 v12, s2, v1
	v_add_u32_e32 v13, v10, v9
	v_mul_hi_u32 v8, v1, v12
	v_mul_hi_u32 v11, v1, v13
	v_mul_lo_u32 v10, v1, v13
	v_mov_b32_e32 v9, v2
	v_lshl_add_u64 v[8:9], v[8:9], 0, v[10:11]
	v_mul_hi_u32 v11, v3, v12
	v_mul_lo_u32 v12, v3, v12
	v_add_co_u32_e32 v8, vcc, v8, v12
	v_mul_hi_u32 v10, v3, v13
	s_nop 0
	v_addc_co_u32_e32 v8, vcc, v9, v11, vcc
	v_mov_b32_e32 v9, v2
	s_nop 0
	v_addc_co_u32_e32 v11, vcc, 0, v10, vcc
	v_mul_lo_u32 v10, v3, v13
	v_lshl_add_u64 v[8:9], v[8:9], 0, v[10:11]
	v_add_co_u32_e32 v1, vcc, v1, v8
	v_mul_lo_u32 v10, s2, v1
	s_nop 0
	v_addc_co_u32_e32 v3, vcc, v3, v9, vcc
	v_mul_lo_u32 v8, s2, v3
	v_mul_hi_u32 v9, s2, v1
	v_add_u32_e32 v8, v9, v8
	v_mul_lo_u32 v9, s3, v1
	v_add_u32_e32 v12, v8, v9
	v_mul_hi_u32 v14, v3, v10
	v_mul_lo_u32 v15, v3, v10
	v_mul_hi_u32 v9, v1, v12
	v_mul_lo_u32 v8, v1, v12
	v_mul_hi_u32 v10, v1, v10
	v_mov_b32_e32 v11, v2
	v_lshl_add_u64 v[8:9], v[10:11], 0, v[8:9]
	v_add_co_u32_e32 v8, vcc, v8, v15
	v_mul_hi_u32 v13, v3, v12
	s_nop 0
	v_addc_co_u32_e32 v8, vcc, v9, v14, vcc
	v_mul_lo_u32 v10, v3, v12
	s_nop 0
	v_addc_co_u32_e32 v11, vcc, 0, v13, vcc
	v_mov_b32_e32 v9, v2
	v_lshl_add_u64 v[8:9], v[8:9], 0, v[10:11]
	v_add_co_u32_e32 v1, vcc, v1, v8
	v_mul_hi_u32 v10, v6, v1
	s_nop 0
	v_addc_co_u32_e32 v3, vcc, v3, v9, vcc
	v_mad_u64_u32 v[8:9], s[2:3], v6, v3, 0
	v_mov_b32_e32 v11, v2
	v_lshl_add_u64 v[8:9], v[10:11], 0, v[8:9]
	v_mad_u64_u32 v[12:13], s[2:3], v7, v1, 0
	v_add_co_u32_e32 v1, vcc, v8, v12
	v_mad_u64_u32 v[10:11], s[2:3], v7, v3, 0
	s_nop 0
	v_addc_co_u32_e32 v8, vcc, v9, v13, vcc
	v_mov_b32_e32 v9, v2
	s_nop 0
	v_addc_co_u32_e32 v11, vcc, 0, v11, vcc
	v_lshl_add_u64 v[8:9], v[8:9], 0, v[10:11]
	v_mul_lo_u32 v1, s25, v8
	v_mul_lo_u32 v3, s24, v9
	v_mad_u64_u32 v[10:11], s[2:3], s24, v8, 0
	v_add3_u32 v1, v11, v3, v1
	v_sub_u32_e32 v3, v7, v1
	v_mov_b32_e32 v11, s25
	v_sub_co_u32_e32 v14, vcc, v6, v10
	v_lshl_add_u64 v[12:13], v[8:9], 0, 1
	s_nop 0
	v_subb_co_u32_e64 v3, s[2:3], v3, v11, vcc
	v_subrev_co_u32_e64 v10, s[2:3], s24, v14
	v_subb_co_u32_e32 v1, vcc, v7, v1, vcc
	s_nop 0
	v_subbrev_co_u32_e64 v3, s[2:3], 0, v3, s[2:3]
	v_cmp_le_u32_e64 s[2:3], s25, v3
	v_cmp_le_u32_e32 vcc, s25, v1
	s_nop 0
	v_cndmask_b32_e64 v11, 0, -1, s[2:3]
	v_cmp_le_u32_e64 s[2:3], s24, v10
	s_nop 1
	v_cndmask_b32_e64 v10, 0, -1, s[2:3]
	v_cmp_eq_u32_e64 s[2:3], s25, v3
	s_nop 1
	v_cndmask_b32_e64 v3, v11, v10, s[2:3]
	v_lshl_add_u64 v[10:11], v[8:9], 0, 2
	v_cmp_ne_u32_e64 s[2:3], 0, v3
	s_nop 1
	v_cndmask_b32_e64 v3, v13, v11, s[2:3]
	v_cndmask_b32_e64 v11, 0, -1, vcc
	v_cmp_le_u32_e32 vcc, s24, v14
	s_nop 1
	v_cndmask_b32_e64 v13, 0, -1, vcc
	v_cmp_eq_u32_e32 vcc, s25, v1
	s_nop 1
	v_cndmask_b32_e32 v1, v11, v13, vcc
	v_cmp_ne_u32_e32 vcc, 0, v1
	v_cndmask_b32_e64 v1, v12, v10, s[2:3]
	s_nop 0
	v_cndmask_b32_e32 v151, v9, v3, vcc
	v_cndmask_b32_e32 v150, v8, v1, vcc
.LBB0_4:                                ;   in Loop: Header=BB0_2 Depth=1
	s_andn2_saveexec_b64 s[2:3], s[26:27]
	s_cbranch_execz .LBB0_6
; %bb.5:                                ;   in Loop: Header=BB0_2 Depth=1
	v_cvt_f32_u32_e32 v1, s24
	s_sub_i32 s26, 0, s24
	v_mov_b32_e32 v151, v2
	v_rcp_iflag_f32_e32 v1, v1
	s_nop 0
	v_mul_f32_e32 v1, 0x4f7ffffe, v1
	v_cvt_u32_f32_e32 v1, v1
	v_mul_lo_u32 v3, s26, v1
	v_mul_hi_u32 v3, v1, v3
	v_add_u32_e32 v1, v1, v3
	v_mul_hi_u32 v1, v6, v1
	v_mul_lo_u32 v3, v1, s24
	v_sub_u32_e32 v3, v6, v3
	v_add_u32_e32 v8, 1, v1
	v_subrev_u32_e32 v9, s24, v3
	v_cmp_le_u32_e32 vcc, s24, v3
	s_nop 1
	v_cndmask_b32_e32 v3, v3, v9, vcc
	v_cndmask_b32_e32 v1, v1, v8, vcc
	v_add_u32_e32 v8, 1, v1
	v_cmp_le_u32_e32 vcc, s24, v3
	s_nop 1
	v_cndmask_b32_e32 v150, v1, v8, vcc
.LBB0_6:                                ;   in Loop: Header=BB0_2 Depth=1
	s_or_b64 exec, exec, s[2:3]
	v_mad_u64_u32 v[8:9], s[2:3], v150, s24, 0
	s_load_dwordx2 s[2:3], s[18:19], 0x0
	v_mul_lo_u32 v1, v151, s24
	v_mul_lo_u32 v3, v150, s25
	s_load_dwordx2 s[24:25], s[16:17], 0x0
	s_add_u32 s22, s22, 1
	v_add3_u32 v1, v9, v3, v1
	v_sub_co_u32_e32 v3, vcc, v6, v8
	s_addc_u32 s23, s23, 0
	s_nop 0
	v_subb_co_u32_e32 v1, vcc, v7, v1, vcc
	s_add_u32 s16, s16, 8
	s_waitcnt lgkmcnt(0)
	v_mul_lo_u32 v6, s2, v1
	v_mul_lo_u32 v7, s3, v3
	v_mad_u64_u32 v[4:5], s[2:3], s2, v3, v[4:5]
	s_addc_u32 s17, s17, 0
	v_add3_u32 v5, v7, v5, v6
	v_mul_lo_u32 v1, s24, v1
	v_mul_lo_u32 v6, s25, v3
	v_mad_u64_u32 v[148:149], s[2:3], s24, v3, v[148:149]
	s_add_u32 s18, s18, 8
	v_add3_u32 v149, v6, v149, v1
	s_addc_u32 s19, s19, 0
	v_mov_b64_e32 v[6:7], s[10:11]
	s_add_u32 s20, s20, 8
	v_cmp_ge_u64_e32 vcc, s[22:23], v[6:7]
	s_addc_u32 s21, s21, 0
	s_cbranch_vccnz .LBB0_9
; %bb.7:                                ;   in Loop: Header=BB0_2 Depth=1
	v_mov_b64_e32 v[6:7], v[150:151]
	s_branch .LBB0_2
.LBB0_8:
	v_mov_b64_e32 v[148:149], v[4:5]
	v_mov_b64_e32 v[150:151], v[6:7]
.LBB0_9:
	s_load_dwordx2 s[2:3], s[0:1], 0x28
	s_lshl_b64 s[16:17], s[10:11], 3
	s_add_u32 s10, s14, s16
	s_addc_u32 s11, s15, s17
                                        ; implicit-def: $vgpr166
                                        ; implicit-def: $vgpr156
	s_waitcnt lgkmcnt(0)
	v_cmp_gt_u64_e64 s[0:1], s[2:3], v[150:151]
	v_cmp_le_u64_e32 vcc, s[2:3], v[150:151]
	s_and_saveexec_b64 s[2:3], vcc
	s_xor_b64 s[2:3], exec, s[2:3]
; %bb.10:
	s_mov_b32 s14, 0x4924925
	v_mul_hi_u32 v1, v0, s14
	v_mul_u32_u24_e32 v1, 56, v1
	v_sub_u32_e32 v166, v0, v1
	v_or_b32_e32 v156, 0x1c0, v166
                                        ; implicit-def: $vgpr0
                                        ; implicit-def: $vgpr4_vgpr5
; %bb.11:
	s_or_saveexec_b64 s[2:3], s[2:3]
	s_load_dwordx2 s[10:11], s[10:11], 0x0
                                        ; implicit-def: $vgpr72_vgpr73
                                        ; implicit-def: $vgpr64_vgpr65
                                        ; implicit-def: $vgpr40_vgpr41
                                        ; implicit-def: $vgpr36_vgpr37
                                        ; implicit-def: $vgpr44_vgpr45
                                        ; implicit-def: $vgpr52_vgpr53
                                        ; implicit-def: $vgpr56_vgpr57
                                        ; implicit-def: $vgpr48_vgpr49
                                        ; implicit-def: $vgpr26_vgpr27
                                        ; implicit-def: $vgpr60_vgpr61
                                        ; implicit-def: $vgpr30_vgpr31
                                        ; implicit-def: $vgpr22_vgpr23
                                        ; implicit-def: $vgpr68_vgpr69
                                        ; implicit-def: $vgpr18_vgpr19
                                        ; implicit-def: $vgpr14_vgpr15
                                        ; implicit-def: $vgpr10_vgpr11
                                        ; implicit-def: $vgpr6_vgpr7
                                        ; implicit-def: $vgpr98_vgpr99
                                        ; implicit-def: $vgpr2_vgpr3
                                        ; implicit-def: $vgpr106_vgpr107
                                        ; implicit-def: $vgpr102_vgpr103
                                        ; implicit-def: $vgpr114_vgpr115
                                        ; implicit-def: $vgpr110_vgpr111
                                        ; implicit-def: $vgpr118_vgpr119
                                        ; implicit-def: $vgpr122_vgpr123
                                        ; implicit-def: $vgpr126_vgpr127
	s_xor_b64 exec, exec, s[2:3]
	s_cbranch_execz .LBB0_15
; %bb.12:
	s_add_u32 s12, s12, s16
	s_addc_u32 s13, s13, s17
	s_load_dwordx2 s[12:13], s[12:13], 0x0
	s_mov_b32 s14, 0x4924925
	v_mov_b32_e32 v73, 0
	s_waitcnt lgkmcnt(0)
	v_mul_lo_u32 v1, s13, v150
	v_mul_lo_u32 v6, s12, v151
	v_mad_u64_u32 v[2:3], s[12:13], s12, v150, 0
	v_add3_u32 v3, v3, v6, v1
	v_mul_hi_u32 v1, v0, s14
	v_mul_u32_u24_e32 v1, 56, v1
	v_sub_u32_e32 v166, v0, v1
	v_lshl_add_u64 v[0:1], v[2:3], 4, s[4:5]
	v_lshl_add_u64 v[64:65], v[4:5], 4, v[0:1]
	v_lshlrev_b32_e32 v72, 4, v166
	v_lshl_add_u64 v[32:33], v[64:65], 0, v[72:73]
	s_movk_i32 s4, 0x2000
	v_add_co_u32_e32 v62, vcc, s4, v32
	s_movk_i32 s4, 0x3000
	s_nop 0
	v_addc_co_u32_e32 v63, vcc, 0, v33, vcc
	v_add_co_u32_e32 v70, vcc, s4, v32
	s_movk_i32 s4, 0x1000
	s_nop 0
	v_addc_co_u32_e32 v71, vcc, 0, v33, vcc
	;; [unrolled: 4-line block ×3, first 2 shown]
	v_add_co_u32_e32 v76, vcc, s4, v32
	v_or_b32_e32 v156, 0x1c0, v166
	s_nop 0
	v_addc_co_u32_e32 v77, vcc, 0, v33, vcc
	v_lshlrev_b32_e32 v72, 4, v156
	v_add_co_u32_e32 v80, vcc, 0x5000, v32
	global_load_dwordx4 v[0:3], v[70:71], off offset:1600
	global_load_dwordx4 v[4:7], v[70:71], off offset:2496
	;; [unrolled: 1-line block ×6, first 2 shown]
	v_lshl_add_u64 v[78:79], v[64:65], 0, v[72:73]
	global_load_dwordx4 v[28:31], v[76:77], off offset:1088
	global_load_dwordx4 v[24:27], v[76:77], off offset:1984
	v_addc_co_u32_e32 v81, vcc, 0, v33, vcc
	global_load_dwordx4 v[66:69], v[76:77], off offset:192
	global_load_dwordx4 v[46:49], v[74:75], off offset:3968
	;; [unrolled: 1-line block ×8, first 2 shown]
	global_load_dwordx4 v[58:61], v[78:79], off
	global_load_dwordx4 v[38:41], v[80:81], off offset:576
	global_load_dwordx4 v[50:53], v[62:63], off offset:768
	;; [unrolled: 1-line block ×3, first 2 shown]
	global_load_dwordx4 v[124:127], v[32:33], off
	global_load_dwordx4 v[116:119], v[32:33], off offset:896
	global_load_dwordx4 v[112:115], v[32:33], off offset:1792
                                        ; kill: killed $vgpr80 killed $vgpr81
                                        ; kill: killed $vgpr74 killed $vgpr75
                                        ; kill: killed $vgpr70 killed $vgpr71
                                        ; kill: killed $vgpr78_vgpr79
                                        ; kill: killed $vgpr62 killed $vgpr63
                                        ; kill: killed $vgpr76 killed $vgpr77
	global_load_dwordx4 v[104:107], v[32:33], off offset:2688
	v_cmp_gt_u32_e32 vcc, 28, v166
                                        ; implicit-def: $vgpr62_vgpr63
                                        ; implicit-def: $vgpr70_vgpr71
	s_and_saveexec_b64 s[4:5], vcc
	s_cbranch_execz .LBB0_14
; %bb.13:
	v_or_b32_e32 v72, 0x2a0, v166
	v_lshl_add_u64 v[74:75], v[72:73], 4, v[64:65]
	v_add_co_u32_e32 v32, vcc, 0x5000, v32
	s_nop 1
	v_addc_co_u32_e32 v33, vcc, 0, v33, vcc
	global_load_dwordx4 v[62:65], v[74:75], off
	global_load_dwordx4 v[70:73], v[32:33], off offset:1472
.LBB0_14:
	s_or_b64 exec, exec, s[4:5]
.LBB0_15:
	s_or_b64 exec, exec, s[2:3]
	s_waitcnt vmcnt(3)
	v_add_f64 v[76:77], v[124:125], -v[120:121]
	s_waitcnt vmcnt(2)
	v_add_f64 v[80:81], v[116:117], -v[108:109]
	v_add_u32_e32 v168, 56, v166
	v_fma_f64 v[74:75], v[124:125], 2.0, -v[76:77]
	v_fma_f64 v[78:79], v[116:117], 2.0, -v[80:81]
	s_waitcnt vmcnt(1)
	v_add_f64 v[84:85], v[112:113], -v[100:101]
	v_lshl_add_u32 v100, v166, 4, 0
	v_lshl_add_u32 v101, v168, 4, 0
	ds_write_b128 v100, v[74:77]
	ds_write_b128 v101, v[78:81]
	v_add_f64 v[76:77], v[96:97], -v[4:5]
	v_add_f64 v[80:81], v[8:9], -v[12:13]
	v_add_u32_e32 v171, 0xe0, v166
	v_fma_f64 v[74:75], v[96:97], 2.0, -v[76:77]
	v_fma_f64 v[78:79], v[8:9], 2.0, -v[80:81]
	v_lshl_add_u32 v9, v171, 4, 0
	ds_write_b128 v9, v[74:77]
	v_add_f64 v[76:77], v[16:17], -v[66:67]
	v_add_u32_e32 v5, 0x150, v166
	v_fma_f64 v[74:75], v[16:17], 2.0, -v[76:77]
	v_lshl_add_u32 v13, v5, 4, 0
	ds_write_b128 v13, v[74:77]
	v_add_f64 v[76:77], v[20:21], -v[28:29]
	v_add_u32_e32 v8, 0x188, v166
	v_fma_f64 v[74:75], v[20:21], 2.0, -v[76:77]
	v_lshl_add_u32 v16, v8, 4, 0
	s_waitcnt vmcnt(0)
	v_add_f64 v[88:89], v[104:105], -v[0:1]
	v_add_u32_e32 v169, 0x70, v166
	v_add_u32_e32 v170, 0xa8, v166
	;; [unrolled: 1-line block ×3, first 2 shown]
	ds_write_b128 v16, v[74:77]
	v_add_f64 v[76:77], v[58:59], -v[24:25]
	v_fma_f64 v[82:83], v[112:113], 2.0, -v[84:85]
	v_fma_f64 v[86:87], v[104:105], 2.0, -v[88:89]
	v_lshl_add_u32 v104, v169, 4, 0
	v_lshl_add_u32 v105, v170, 4, 0
	;; [unrolled: 1-line block ×3, first 2 shown]
	v_fma_f64 v[74:75], v[58:59], 2.0, -v[76:77]
	v_lshl_add_u32 v17, v156, 4, 0
	ds_write_b128 v104, v[82:85]
	ds_write_b128 v105, v[86:89]
	;; [unrolled: 1-line block ×4, first 2 shown]
	v_add_f64 v[76:77], v[46:47], -v[54:55]
	v_fma_f64 v[74:75], v[46:47], 2.0, -v[76:77]
	v_add_u32_e32 v46, 0x1f8, v166
	v_lshl_add_u32 v20, v46, 4, 0
	ds_write_b128 v20, v[74:77]
	v_add_f64 v[76:77], v[50:51], -v[42:43]
	v_add_u32_e32 v42, 0x230, v166
	v_fma_f64 v[74:75], v[50:51], 2.0, -v[76:77]
	v_lshl_add_u32 v21, v42, 4, 0
	ds_write_b128 v21, v[74:77]
	v_add_f64 v[76:77], v[34:35], -v[38:39]
	v_fma_f64 v[74:75], v[34:35], 2.0, -v[76:77]
	v_add_u32_e32 v39, 0x268, v166
	v_add_f64 v[34:35], v[62:63], -v[70:71]
	v_add_u32_e32 v38, 0x2a0, v166
	v_lshl_add_u32 v25, v39, 4, 0
	v_fma_f64 v[32:33], v[62:63], 2.0, -v[34:35]
	v_cmp_gt_u32_e32 vcc, 28, v166
	v_lshl_add_u32 v24, v38, 4, 0
	ds_write_b128 v25, v[74:77]
	s_and_saveexec_b64 s[2:3], vcc
	s_cbranch_execz .LBB0_17
; %bb.16:
	ds_write_b128 v24, v[32:35]
.LBB0_17:
	s_or_b64 exec, exec, s[2:3]
	v_lshl_add_u32 v167, v166, 3, 0
	v_add_u32_e32 v0, 0x1000, v167
	s_waitcnt lgkmcnt(0)
	; wave barrier
	s_waitcnt lgkmcnt(0)
	ds_read2_b64 v[94:97], v0 offset0:104 offset1:188
	v_add_u32_e32 v0, 0x1400, v167
	ds_read2_b64 v[128:131], v167 offset1:56
	ds_read2_b64 v[90:93], v0 offset0:116 offset1:172
	ds_read2_b64 v[132:135], v167 offset0:112 offset1:168
	v_add_u32_e32 v0, 0x1800, v167
	ds_read2_b64 v[86:89], v0 offset0:100 offset1:156
	v_add_u32_e32 v0, 0x400, v167
	;; [unrolled: 2-line block ×5, first 2 shown]
	v_add_u32_e32 v1, 0xc00, v167
	ds_read2_b64 v[78:81], v0 offset0:68 offset1:124
	v_lshl_add_u32 v157, v156, 3, 0
	ds_read2_b64 v[144:147], v1 offset0:120 offset1:176
	ds_read2_b64 v[74:77], v0 offset0:180 offset1:236
	ds_read_b64 v[28:29], v157
	ds_read_b64 v[152:153], v167 offset:10528
	s_and_saveexec_b64 s[2:3], vcc
	s_cbranch_execz .LBB0_19
; %bb.18:
	ds_read_b64 v[32:33], v167 offset:5376
	ds_read_b64 v[34:35], v167 offset:10976
.LBB0_19:
	s_or_b64 exec, exec, s[2:3]
	v_add_f64 v[122:123], v[126:127], -v[122:123]
	v_fma_f64 v[120:121], v[126:127], 2.0, -v[122:123]
	v_add_f64 v[126:127], v[106:107], -v[2:3]
	v_add_f64 v[2:3], v[64:65], -v[72:73]
	;; [unrolled: 1-line block ×12, first 2 shown]
	v_fma_f64 v[0:1], v[64:65], 2.0, -v[2:3]
	v_fma_f64 v[108:109], v[118:119], 2.0, -v[110:111]
	;; [unrolled: 1-line block ×12, first 2 shown]
	s_waitcnt lgkmcnt(0)
	; wave barrier
	s_waitcnt lgkmcnt(0)
	ds_write_b128 v100, v[120:123]
	ds_write_b128 v101, v[108:111]
	;; [unrolled: 1-line block ×12, first 2 shown]
	s_and_saveexec_b64 s[2:3], vcc
	s_cbranch_execz .LBB0_21
; %bb.20:
	ds_write_b128 v24, v[0:3]
.LBB0_21:
	s_or_b64 exec, exec, s[2:3]
	v_lshlrev_b32_e32 v173, 1, v4
	v_add_u32_e32 v4, 0x1000, v167
	v_add_u32_e32 v12, 0x1400, v167
	v_lshlrev_b32_e32 v161, 1, v5
	v_lshlrev_b32_e32 v160, 1, v8
	s_waitcnt lgkmcnt(0)
	; wave barrier
	s_waitcnt lgkmcnt(0)
	ds_read2_b64 v[8:11], v167 offset1:56
	ds_read2_b64 v[4:7], v4 offset0:104 offset1:188
	ds_read2_b64 v[98:101], v12 offset0:116 offset1:172
	;; [unrolled: 1-line block ×3, first 2 shown]
	v_add_u32_e32 v12, 0x1800, v167
	ds_read2_b64 v[68:71], v12 offset0:100 offset1:156
	v_add_u32_e32 v12, 0x400, v167
	ds_read2_b64 v[20:23], v12 offset0:96 offset1:152
	;; [unrolled: 2-line block ×4, first 2 shown]
	v_add_u32_e32 v30, 0x2000, v167
	v_add_u32_e32 v12, 0xc00, v167
	ds_read2_b64 v[56:59], v30 offset0:68 offset1:124
	ds_read2_b64 v[12:15], v12 offset0:120 offset1:176
	;; [unrolled: 1-line block ×3, first 2 shown]
	ds_read_b64 v[72:73], v157
	ds_read_b64 v[154:155], v167 offset:10528
	v_lshlrev_b32_e32 v162, 1, v166
	v_lshlrev_b32_e32 v163, 1, v168
	;; [unrolled: 1-line block ×9, first 2 shown]
	s_and_saveexec_b64 s[2:3], vcc
	s_cbranch_execz .LBB0_23
; %bb.22:
	ds_read_b64 v[0:1], v167 offset:5376
	ds_read_b64 v[2:3], v167 offset:10976
.LBB0_23:
	s_or_b64 exec, exec, s[2:3]
	v_and_b32_e32 v175, 1, v166
	v_lshlrev_b32_e32 v30, 4, v175
	global_load_dwordx4 v[102:105], v30, s[8:9]
	s_movk_i32 s2, 0x7c
	s_waitcnt lgkmcnt(0)
	; wave barrier
	s_waitcnt lgkmcnt(0)
	s_movk_i32 s3, 0x2fc
	s_waitcnt vmcnt(0)
	v_mul_f64 v[36:37], v[98:99], v[104:105]
	v_mul_f64 v[66:67], v[48:49], v[104:105]
	;; [unrolled: 1-line block ×3, first 2 shown]
	v_fma_f64 v[36:37], v[90:91], v[102:103], -v[36:37]
	v_fma_f64 v[66:67], v[74:75], v[102:103], -v[66:67]
	;; [unrolled: 1-line block ×3, first 2 shown]
	v_mul_f64 v[110:111], v[2:3], v[104:105]
	v_mul_f64 v[30:31], v[6:7], v[104:105]
	v_fma_f64 v[110:111], v[34:35], v[102:103], -v[110:111]
	v_add_f64 v[36:37], v[130:131], -v[36:37]
	v_add_f64 v[66:67], v[144:145], -v[66:67]
	;; [unrolled: 1-line block ×3, first 2 shown]
	v_fma_f64 v[30:31], v[96:97], v[102:103], -v[30:31]
	v_fma_f64 v[114:115], v[130:131], 2.0, -v[36:37]
	v_fma_f64 v[130:131], v[144:145], 2.0, -v[66:67]
	;; [unrolled: 1-line block ×3, first 2 shown]
	v_add_f64 v[94:95], v[32:33], -v[110:111]
	v_add_f64 v[30:31], v[128:129], -v[30:31]
	v_fma_f64 v[126:127], v[32:33], 2.0, -v[94:95]
	v_and_or_b32 v32, v162, s2, v175
	v_mul_f64 v[40:41], v[100:101], v[104:105]
	v_fma_f64 v[112:113], v[128:129], 2.0, -v[30:31]
	v_lshl_add_u32 v32, v32, 3, 0
	s_movk_i32 s2, 0xfc
	v_fma_f64 v[40:41], v[92:93], v[102:103], -v[40:41]
	v_mul_f64 v[42:43], v[68:69], v[104:105]
	ds_write2_b64 v32, v[112:113], v[30:31] offset1:2
	v_and_or_b32 v30, v163, s2, v175
	s_movk_i32 s2, 0x1fc
	v_fma_f64 v[42:43], v[86:87], v[102:103], -v[42:43]
	v_add_f64 v[40:41], v[132:133], -v[40:41]
	v_lshl_add_u32 v33, v30, 3, 0
	v_and_or_b32 v30, v164, s2, v175
	v_mul_f64 v[44:45], v[70:71], v[104:105]
	v_fma_f64 v[116:117], v[132:133], 2.0, -v[40:41]
	v_add_f64 v[42:43], v[134:135], -v[42:43]
	v_lshl_add_u32 v133, v30, 3, 0
	v_and_or_b32 v30, v165, s2, v175
	s_movk_i32 s2, 0x3fc
	v_fma_f64 v[44:45], v[88:89], v[102:103], -v[44:45]
	v_fma_f64 v[118:119], v[134:135], 2.0, -v[42:43]
	v_lshl_add_u32 v134, v30, 3, 0
	v_and_or_b32 v30, v172, s2, v175
	v_mul_f64 v[46:47], v[60:61], v[104:105]
	v_add_f64 v[44:45], v[136:137], -v[44:45]
	v_lshl_add_u32 v135, v30, 3, 0
	v_and_or_b32 v30, v173, s3, v175
	v_fma_f64 v[46:47], v[82:83], v[102:103], -v[46:47]
	v_mul_f64 v[52:53], v[62:63], v[104:105]
	v_mul_f64 v[54:55], v[56:57], v[104:105]
	;; [unrolled: 1-line block ×3, first 2 shown]
	v_fma_f64 v[120:121], v[136:137], 2.0, -v[44:45]
	v_lshl_add_u32 v136, v30, 3, 0
	v_and_or_b32 v30, v161, s2, v175
	v_fma_f64 v[52:53], v[84:85], v[102:103], -v[52:53]
	v_fma_f64 v[54:55], v[78:79], v[102:103], -v[54:55]
	;; [unrolled: 1-line block ×3, first 2 shown]
	v_add_f64 v[46:47], v[138:139], -v[46:47]
	v_lshl_add_u32 v137, v30, 3, 0
	v_and_or_b32 v30, v160, s2, v175
	v_fma_f64 v[122:123], v[138:139], 2.0, -v[46:47]
	v_add_f64 v[52:53], v[140:141], -v[52:53]
	v_add_f64 v[54:55], v[142:143], -v[54:55]
	;; [unrolled: 1-line block ×3, first 2 shown]
	v_lshl_add_u32 v138, v30, 3, 0
	v_and_or_b32 v30, v174, s2, v175
	v_mul_f64 v[106:107], v[50:51], v[104:105]
	v_fma_f64 v[124:125], v[140:141], 2.0, -v[52:53]
	v_fma_f64 v[128:129], v[142:143], 2.0, -v[54:55]
	;; [unrolled: 1-line block ×3, first 2 shown]
	v_lshl_add_u32 v139, v30, 3, 0
	s_movk_i32 s2, 0x7fc
	v_fma_f64 v[106:107], v[76:77], v[102:103], -v[106:107]
	ds_write2_b64 v33, v[114:115], v[36:37] offset1:2
	ds_write2_b64 v133, v[116:117], v[40:41] offset1:2
	;; [unrolled: 1-line block ×8, first 2 shown]
	v_and_or_b32 v28, v159, s2, v175
	s_movk_i32 s2, 0x4fc
	v_add_f64 v[106:107], v[146:147], -v[106:107]
	v_lshl_add_u32 v140, v28, 3, 0
	v_and_or_b32 v28, v158, s2, v175
	s_movk_i32 s2, 0x5fc
	v_fma_f64 v[142:143], v[146:147], 2.0, -v[106:107]
	v_lshl_add_u32 v141, v28, 3, 0
	v_and_or_b32 v28, v156, s2, v175
	ds_write2_b64 v140, v[130:131], v[66:67] offset1:2
	ds_write2_b64 v141, v[142:143], v[106:107] offset1:2
	v_lshl_add_u32 v142, v28, 3, 0
	v_lshlrev_b32_e32 v132, 1, v38
	ds_write2_b64 v142, v[144:145], v[108:109] offset1:2
	s_and_saveexec_b64 s[2:3], vcc
	s_cbranch_execz .LBB0_25
; %bb.24:
	s_movk_i32 s4, 0x57c
	v_and_or_b32 v28, v132, s4, v175
	v_lshl_add_u32 v28, v28, 3, 0
	ds_write2_b64 v28, v[126:127], v[94:95] offset1:2
.LBB0_25:
	s_or_b64 exec, exec, s[2:3]
	v_add_u32_e32 v28, 0x1000, v167
	s_waitcnt lgkmcnt(0)
	; wave barrier
	s_waitcnt lgkmcnt(0)
	ds_read2_b64 v[64:67], v28 offset0:104 offset1:188
	v_add_u32_e32 v28, 0x1400, v167
	ds_read2_b64 v[106:109], v167 offset1:56
	ds_read2_b64 v[52:55], v28 offset0:116 offset1:172
	ds_read2_b64 v[110:113], v167 offset0:112 offset1:168
	v_add_u32_e32 v28, 0x1800, v167
	ds_read2_b64 v[44:47], v28 offset0:100 offset1:156
	v_add_u32_e32 v28, 0x400, v167
	;; [unrolled: 2-line block ×5, first 2 shown]
	v_add_u32_e32 v29, 0xc00, v167
	ds_read2_b64 v[36:39], v28 offset0:68 offset1:124
	ds_read2_b64 v[122:125], v29 offset0:120 offset1:176
	;; [unrolled: 1-line block ×3, first 2 shown]
	ds_read_b64 v[130:131], v157
	ds_read_b64 v[128:129], v167 offset:10528
	s_and_saveexec_b64 s[2:3], vcc
	s_cbranch_execz .LBB0_27
; %bb.26:
	ds_read_b64 v[126:127], v167 offset:5376
	ds_read_b64 v[94:95], v167 offset:10976
.LBB0_27:
	s_or_b64 exec, exec, s[2:3]
	v_mul_f64 v[86:87], v[86:87], v[104:105]
	v_fmac_f64_e32 v[86:87], v[68:69], v[102:103]
	v_mul_f64 v[68:69], v[88:89], v[104:105]
	v_fmac_f64_e32 v[68:69], v[70:71], v[102:103]
	;; [unrolled: 2-line block ×6, first 2 shown]
	v_mul_f64 v[58:59], v[74:75], v[104:105]
	v_mul_f64 v[96:97], v[96:97], v[104:105]
	v_fmac_f64_e32 v[58:59], v[48:49], v[102:103]
	v_mul_f64 v[48:49], v[76:77], v[104:105]
	v_mul_f64 v[34:35], v[34:35], v[104:105]
	v_fmac_f64_e32 v[96:97], v[6:7], v[102:103]
	;; [unrolled: 3-line block ×3, first 2 shown]
	v_mul_f64 v[50:51], v[152:153], v[104:105]
	v_fmac_f64_e32 v[34:35], v[2:3], v[102:103]
	v_add_f64 v[62:63], v[26:27], -v[62:63]
	v_fmac_f64_e32 v[6:7], v[98:99], v[102:103]
	v_fmac_f64_e32 v[90:91], v[100:101], v[102:103]
	;; [unrolled: 1-line block ×3, first 2 shown]
	v_add_f64 v[2:3], v[8:9], -v[96:97]
	v_fma_f64 v[80:81], v[26:27], 2.0, -v[62:63]
	v_add_f64 v[26:27], v[0:1], -v[34:35]
	v_fma_f64 v[8:9], v[8:9], 2.0, -v[2:3]
	v_add_f64 v[6:7], v[10:11], -v[6:7]
	v_add_f64 v[74:75], v[16:17], -v[90:91]
	;; [unrolled: 1-line block ×10, first 2 shown]
	v_fma_f64 v[76:77], v[0:1], 2.0, -v[26:27]
	v_fma_f64 v[10:11], v[10:11], 2.0, -v[6:7]
	;; [unrolled: 1-line block ×11, first 2 shown]
	s_waitcnt lgkmcnt(0)
	; wave barrier
	s_waitcnt lgkmcnt(0)
	ds_write2_b64 v32, v[8:9], v[2:3] offset1:2
	ds_write2_b64 v33, v[10:11], v[6:7] offset1:2
	;; [unrolled: 1-line block ×12, first 2 shown]
	s_and_saveexec_b64 s[2:3], vcc
	s_cbranch_execz .LBB0_29
; %bb.28:
	s_movk_i32 s4, 0x57c
	v_and_or_b32 v0, v132, s4, v175
	v_lshl_add_u32 v0, v0, 3, 0
	ds_write2_b64 v0, v[76:77], v[26:27] offset1:2
.LBB0_29:
	s_or_b64 exec, exec, s[2:3]
	v_add_u32_e32 v0, 0x1000, v167
	s_waitcnt lgkmcnt(0)
	; wave barrier
	s_waitcnt lgkmcnt(0)
	ds_read2_b64 v[2:5], v0 offset0:104 offset1:188
	v_add_u32_e32 v0, 0x1400, v167
	ds_read2_b64 v[6:9], v167 offset1:56
	ds_read2_b64 v[68:71], v0 offset0:116 offset1:172
	ds_read2_b64 v[14:17], v167 offset0:112 offset1:168
	v_add_u32_e32 v0, 0x1800, v167
	ds_read2_b64 v[60:63], v0 offset0:100 offset1:156
	v_add_u32_e32 v0, 0x400, v167
	;; [unrolled: 2-line block ×5, first 2 shown]
	v_add_u32_e32 v1, 0xc00, v167
	ds_read2_b64 v[48:51], v0 offset0:68 offset1:124
	ds_read2_b64 v[10:13], v1 offset0:120 offset1:176
	;; [unrolled: 1-line block ×3, first 2 shown]
	ds_read_b64 v[78:79], v157
	ds_read_b64 v[80:81], v167 offset:10528
	s_and_saveexec_b64 s[2:3], vcc
	s_cbranch_execz .LBB0_31
; %bb.30:
	ds_read_b64 v[76:77], v167 offset:5376
	ds_read_b64 v[26:27], v167 offset:10976
.LBB0_31:
	s_or_b64 exec, exec, s[2:3]
	v_and_b32_e32 v82, 3, v166
	v_lshlrev_b32_e32 v0, 4, v82
	global_load_dwordx4 v[72:75], v0, s[8:9] offset:32
	s_movk_i32 s2, 0x78
	s_movk_i32 s3, 0xf8
	v_and_or_b32 v0, v162, s2, v82
	v_and_or_b32 v1, v163, s3, v82
	v_lshl_add_u32 v83, v0, 3, 0
	v_lshl_add_u32 v84, v1, 3, 0
	s_movk_i32 s4, 0x1f8
	s_movk_i32 s5, 0x3f8
	s_movk_i32 s12, 0x2f8
	v_and_or_b32 v85, v164, s4, v82
	v_and_or_b32 v86, v165, s4, v82
	;; [unrolled: 1-line block ×7, first 2 shown]
	s_movk_i32 s2, 0x7f8
	s_waitcnt lgkmcnt(0)
	; wave barrier
	s_waitcnt lgkmcnt(0)
	v_lshl_add_u32 v85, v85, 3, 0
	v_lshl_add_u32 v86, v86, 3, 0
	;; [unrolled: 1-line block ×7, first 2 shown]
	s_waitcnt vmcnt(0)
	v_mul_f64 v[0:1], v[4:5], v[74:75]
	v_mul_f64 v[92:93], v[68:69], v[74:75]
	;; [unrolled: 1-line block ×9, first 2 shown]
	v_fma_f64 v[0:1], v[66:67], v[72:73], -v[0:1]
	v_fma_f64 v[92:93], v[52:53], v[72:73], -v[92:93]
	;; [unrolled: 1-line block ×9, first 2 shown]
	v_add_f64 v[146:147], v[106:107], -v[0:1]
	v_add_f64 v[92:93], v[108:109], -v[92:93]
	v_add_f64 v[96:97], v[110:111], -v[96:97]
	v_add_f64 v[98:99], v[112:113], -v[98:99]
	v_add_f64 v[100:101], v[114:115], -v[100:101]
	v_add_f64 v[102:103], v[116:117], -v[102:103]
	v_add_f64 v[104:105], v[118:119], -v[104:105]
	v_add_f64 v[134:135], v[120:121], -v[134:135]
	v_add_f64 v[136:137], v[130:131], -v[136:137]
	v_fma_f64 v[106:107], v[106:107], 2.0, -v[146:147]
	v_mul_f64 v[138:139], v[32:33], v[74:75]
	v_mul_f64 v[140:141], v[34:35], v[74:75]
	v_mul_f64 v[142:143], v[80:81], v[74:75]
	v_fma_f64 v[108:109], v[108:109], 2.0, -v[92:93]
	v_fma_f64 v[110:111], v[110:111], 2.0, -v[96:97]
	;; [unrolled: 1-line block ×8, first 2 shown]
	ds_write2_b64 v83, v[106:107], v[146:147] offset1:4
	ds_write2_b64 v84, v[108:109], v[92:93] offset1:4
	;; [unrolled: 1-line block ×9, first 2 shown]
	v_and_or_b32 v92, v159, s2, v82
	s_movk_i32 s2, 0x4f8
	v_mul_f64 v[144:145], v[26:27], v[74:75]
	v_fma_f64 v[138:139], v[28:29], v[72:73], -v[138:139]
	v_fma_f64 v[140:141], v[30:31], v[72:73], -v[140:141]
	v_fma_f64 v[142:143], v[128:129], v[72:73], -v[142:143]
	v_and_or_b32 v93, v158, s2, v82
	s_movk_i32 s2, 0x5f8
	v_fma_f64 v[144:145], v[94:95], v[72:73], -v[144:145]
	v_add_f64 v[138:139], v[122:123], -v[138:139]
	v_add_f64 v[140:141], v[124:125], -v[140:141]
	;; [unrolled: 1-line block ×3, first 2 shown]
	v_and_or_b32 v96, v156, s2, v82
	v_add_f64 v[0:1], v[126:127], -v[144:145]
	v_fma_f64 v[122:123], v[122:123], 2.0, -v[138:139]
	v_fma_f64 v[124:125], v[124:125], 2.0, -v[140:141]
	;; [unrolled: 1-line block ×3, first 2 shown]
	v_lshl_add_u32 v92, v92, 3, 0
	v_lshl_add_u32 v93, v93, 3, 0
	;; [unrolled: 1-line block ×3, first 2 shown]
	ds_write2_b64 v92, v[122:123], v[138:139] offset1:4
	ds_write2_b64 v93, v[124:125], v[140:141] offset1:4
	;; [unrolled: 1-line block ×3, first 2 shown]
	s_and_saveexec_b64 s[2:3], vcc
	s_cbranch_execz .LBB0_33
; %bb.32:
	s_movk_i32 s4, 0x578
	v_and_or_b32 v64, v132, s4, v82
	v_lshl_add_u32 v97, v64, 3, 0
	v_fma_f64 v[64:65], v[126:127], 2.0, -v[0:1]
	ds_write2_b64 v97, v[64:65], v[0:1] offset1:4
.LBB0_33:
	s_or_b64 exec, exec, s[2:3]
	v_mul_f64 v[64:65], v[66:67], v[74:75]
	v_mul_f64 v[28:29], v[28:29], v[74:75]
	;; [unrolled: 1-line block ×3, first 2 shown]
	v_fmac_f64_e32 v[64:65], v[4:5], v[72:73]
	v_mul_f64 v[4:5], v[52:53], v[74:75]
	v_mul_f64 v[52:53], v[54:55], v[74:75]
	;; [unrolled: 1-line block ×8, first 2 shown]
	v_fmac_f64_e32 v[28:29], v[32:33], v[72:73]
	v_fmac_f64_e32 v[30:31], v[34:35], v[72:73]
	v_mul_f64 v[32:33], v[128:129], v[74:75]
	v_mul_f64 v[34:35], v[94:95], v[74:75]
	v_fmac_f64_e32 v[4:5], v[68:69], v[72:73]
	v_fmac_f64_e32 v[52:53], v[70:71], v[72:73]
	;; [unrolled: 1-line block ×10, first 2 shown]
	v_add_f64 v[72:73], v[6:7], -v[64:65]
	v_fma_f64 v[74:75], v[6:7], 2.0, -v[72:73]
	v_add_f64 v[80:81], v[8:9], -v[4:5]
	v_add_f64 v[104:105], v[18:19], -v[46:47]
	;; [unrolled: 1-line block ×6, first 2 shown]
	v_add_u32_e32 v6, 0x400, v167
	v_add_u32_e32 v144, 0x1000, v167
	;; [unrolled: 1-line block ×5, first 2 shown]
	v_fma_f64 v[94:95], v[8:9], 2.0, -v[80:81]
	v_add_f64 v[98:99], v[14:15], -v[52:53]
	v_add_f64 v[100:101], v[16:17], -v[44:45]
	v_fma_f64 v[106:107], v[18:19], 2.0, -v[104:105]
	v_fma_f64 v[110:111], v[20:21], 2.0, -v[108:109]
	;; [unrolled: 1-line block ×5, first 2 shown]
	s_waitcnt lgkmcnt(0)
	; wave barrier
	s_waitcnt lgkmcnt(0)
	ds_read2_b64 v[22:25], v167 offset1:56
	ds_read2_b64 v[8:11], v6 offset0:96 offset1:152
	ds_read2_b64 v[64:67], v144 offset0:48 offset1:104
	;; [unrolled: 1-line block ×8, first 2 shown]
	v_fma_f64 v[102:103], v[16:17], 2.0, -v[100:101]
	v_add_f64 v[32:33], v[2:3], -v[32:33]
	v_add_u32_e32 v7, 0x2400, v167
	v_add_u32_e32 v16, 0x1c00, v167
	v_fma_f64 v[122:123], v[2:3], 2.0, -v[32:33]
	ds_read2_b64 v[48:51], v7 offset0:80 offset1:136
	ds_read2_b64 v[44:47], v147 offset0:192 offset1:248
	;; [unrolled: 1-line block ×3, first 2 shown]
	ds_read_b64 v[2:3], v167 offset:10752
	v_add_f64 v[38:39], v[78:79], -v[38:39]
	v_add_f64 v[30:31], v[12:13], -v[30:31]
	;; [unrolled: 1-line block ×3, first 2 shown]
	v_fma_f64 v[14:15], v[14:15], 2.0, -v[98:99]
	v_fma_f64 v[78:79], v[78:79], 2.0, -v[38:39]
	;; [unrolled: 1-line block ×3, first 2 shown]
	s_waitcnt lgkmcnt(0)
	; wave barrier
	s_waitcnt lgkmcnt(0)
	ds_write2_b64 v83, v[74:75], v[72:73] offset1:4
	ds_write2_b64 v84, v[94:95], v[80:81] offset1:4
	;; [unrolled: 1-line block ×12, first 2 shown]
	s_and_saveexec_b64 s[2:3], vcc
	s_cbranch_execz .LBB0_35
; %bb.34:
	s_movk_i32 s4, 0x578
	v_and_or_b32 v14, v132, s4, v82
	v_fma_f64 v[12:13], v[76:77], 2.0, -v[4:5]
	v_lshl_add_u32 v14, v14, 3, 0
	ds_write2_b64 v14, v[12:13], v[4:5] offset1:4
.LBB0_35:
	s_or_b64 exec, exec, s[2:3]
	v_and_b32_e32 v214, 7, v166
	v_lshlrev_b32_e32 v12, 6, v214
	s_waitcnt lgkmcnt(0)
	; wave barrier
	s_waitcnt lgkmcnt(0)
	global_load_dwordx4 v[156:159], v12, s[8:9] offset:96
	global_load_dwordx4 v[160:163], v12, s[8:9] offset:112
	;; [unrolled: 1-line block ×4, first 2 shown]
	ds_read2_b64 v[32:35], v167 offset1:56
	ds_read2_b64 v[12:15], v6 offset0:96 offset1:152
	ds_read2_b64 v[94:97], v144 offset0:48 offset1:104
	;; [unrolled: 1-line block ×11, first 2 shown]
	ds_read_b64 v[16:17], v167 offset:10752
	s_mov_b32 s4, 0x134454ff
	s_mov_b32 s5, 0x3fee6f0e
	;; [unrolled: 1-line block ×10, first 2 shown]
	s_waitcnt lgkmcnt(0)
	; wave barrier
	s_waitcnt lgkmcnt(0)
	v_cmp_gt_u32_e32 vcc, 32, v166
	s_waitcnt vmcnt(3)
	v_mul_f64 v[30:31], v[14:15], v[158:159]
	v_mul_f64 v[110:111], v[10:11], v[158:159]
	s_waitcnt vmcnt(2)
	v_mul_f64 v[112:113], v[64:65], v[162:163]
	v_fma_f64 v[140:141], v[10:11], v[156:157], -v[30:31]
	v_mul_f64 v[10:11], v[194:195], v[158:159]
	v_mul_f64 v[76:77], v[94:95], v[162:163]
	;; [unrolled: 1-line block ×3, first 2 shown]
	v_fmac_f64_e32 v[112:113], v[94:95], v[160:161]
	v_fma_f64 v[94:95], v[46:47], v[156:157], -v[10:11]
	v_mul_f64 v[10:11], v[180:181], v[162:163]
	s_waitcnt vmcnt(1)
	v_mul_f64 v[80:81], v[182:183], v[174:175]
	v_mul_f64 v[100:101], v[96:97], v[162:163]
	v_fmac_f64_e32 v[102:103], v[96:97], v[160:161]
	v_fma_f64 v[96:97], v[26:27], v[160:161], -v[10:11]
	v_mul_f64 v[10:11], v[198:199], v[174:175]
	s_waitcnt vmcnt(0)
	v_mul_f64 v[122:123], v[68:69], v[178:179]
	v_mul_f64 v[106:107], v[128:129], v[174:175]
	v_fma_f64 v[142:143], v[64:65], v[160:161], -v[76:77]
	v_fma_f64 v[152:153], v[28:29], v[172:173], -v[80:81]
	;; [unrolled: 1-line block ×4, first 2 shown]
	v_mul_f64 v[10:11], v[16:17], v[178:179]
	v_mul_f64 v[118:119], v[28:29], v[174:175]
	;; [unrolled: 1-line block ×4, first 2 shown]
	v_fmac_f64_e32 v[110:111], v[14:15], v[156:157]
	v_fmac_f64_e32 v[122:123], v[114:115], v[176:177]
	v_fma_f64 v[136:137], v[56:57], v[172:173], -v[106:107]
	v_fma_f64 v[106:107], v[2:3], v[176:177], -v[10:11]
	v_add_f64 v[10:11], v[142:143], v[152:153]
	v_mul_f64 v[108:109], v[70:71], v[178:179]
	v_mul_f64 v[210:211], v[196:197], v[174:175]
	v_fmac_f64_e32 v[118:119], v[182:183], v[172:173]
	v_fma_f64 v[154:155], v[68:69], v[176:177], -v[84:85]
	v_fma_f64 v[132:133], v[60:61], v[156:157], -v[88:89]
	v_mul_f64 v[80:81], v[26:27], v[162:163]
	v_mul_f64 v[88:89], v[2:3], v[178:179]
	v_fma_f64 v[26:27], -0.5, v[10:11], v[22:23]
	v_add_f64 v[10:11], v[110:111], -v[122:123]
	v_mul_f64 v[120:121], v[116:117], v[178:179]
	v_mul_f64 v[74:75], v[40:41], v[174:175]
	v_fmac_f64_e32 v[108:109], v[116:117], v[176:177]
	v_fma_f64 v[116:117], v[40:41], v[172:173], -v[210:211]
	v_fmac_f64_e32 v[88:89], v[16:17], v[176:177]
	v_fma_f64 v[28:29], s[4:5], v[10:11], v[26:27]
	v_add_f64 v[16:17], v[112:113], -v[118:119]
	v_add_f64 v[30:31], v[140:141], -v[142:143]
	;; [unrolled: 1-line block ×3, first 2 shown]
	v_fmac_f64_e32 v[26:27], s[14:15], v[10:11]
	v_fmac_f64_e32 v[28:29], s[2:3], v[16:17]
	v_add_f64 v[30:31], v[30:31], v[40:41]
	v_fmac_f64_e32 v[26:27], s[16:17], v[16:17]
	v_fmac_f64_e32 v[28:29], s[12:13], v[30:31]
	;; [unrolled: 1-line block ×3, first 2 shown]
	v_add_f64 v[30:31], v[140:141], v[154:155]
	v_add_f64 v[2:3], v[22:23], v[140:141]
	v_fma_f64 v[22:23], -0.5, v[30:31], v[22:23]
	v_fma_f64 v[30:31], s[14:15], v[16:17], v[22:23]
	v_fmac_f64_e32 v[22:23], s[4:5], v[16:17]
	v_fmac_f64_e32 v[30:31], s[2:3], v[10:11]
	;; [unrolled: 1-line block ×3, first 2 shown]
	v_add_f64 v[10:11], v[24:25], v[132:133]
	v_mul_f64 v[84:85], v[42:43], v[174:175]
	v_add_f64 v[40:41], v[142:143], -v[140:141]
	v_add_f64 v[42:43], v[152:153], -v[154:155]
	v_add_f64 v[10:11], v[10:11], v[134:135]
	v_mul_f64 v[98:99], v[60:61], v[158:159]
	v_fma_f64 v[138:139], v[70:71], v[176:177], -v[120:121]
	v_add_f64 v[40:41], v[40:41], v[42:43]
	v_add_f64 v[10:11], v[10:11], v[136:137]
	v_mul_f64 v[104:105], v[56:57], v[174:175]
	v_fmac_f64_e32 v[98:99], v[124:125], v[156:157]
	v_fmac_f64_e32 v[30:31], s[12:13], v[40:41]
	;; [unrolled: 1-line block ×3, first 2 shown]
	v_add_f64 v[40:41], v[10:11], v[138:139]
	v_add_f64 v[10:11], v[134:135], v[136:137]
	v_mul_f64 v[90:91], v[58:59], v[174:175]
	v_mul_f64 v[204:205], v[188:189], v[178:179]
	;; [unrolled: 1-line block ×3, first 2 shown]
	v_fmac_f64_e32 v[104:105], v[128:129], v[172:173]
	v_fma_f64 v[42:43], -0.5, v[10:11], v[24:25]
	v_add_f64 v[10:11], v[98:99], -v[108:109]
	v_mul_f64 v[202:203], v[130:131], v[174:175]
	v_mul_f64 v[92:93], v[48:49], v[178:179]
	;; [unrolled: 1-line block ×3, first 2 shown]
	v_fmac_f64_e32 v[90:91], v[130:131], v[172:173]
	v_fma_f64 v[130:131], v[48:49], v[176:177], -v[204:205]
	v_fma_f64 v[14:15], v[44:45], v[156:157], -v[206:207]
	v_mul_f64 v[76:77], v[46:47], v[158:159]
	v_fma_f64 v[44:45], s[4:5], v[10:11], v[42:43]
	v_add_f64 v[16:17], v[102:103], -v[104:105]
	v_add_f64 v[46:47], v[132:133], -v[134:135]
	;; [unrolled: 1-line block ×3, first 2 shown]
	v_fmac_f64_e32 v[42:43], s[14:15], v[10:11]
	v_fmac_f64_e32 v[44:45], s[2:3], v[16:17]
	v_add_f64 v[46:47], v[46:47], v[48:49]
	v_fmac_f64_e32 v[42:43], s[16:17], v[16:17]
	v_fmac_f64_e32 v[44:45], s[12:13], v[46:47]
	;; [unrolled: 1-line block ×3, first 2 shown]
	v_add_f64 v[46:47], v[132:133], v[138:139]
	v_mul_f64 v[164:165], v[126:127], v[158:159]
	v_fmac_f64_e32 v[24:25], -0.5, v[46:47]
	v_mul_f64 v[82:83], v[62:63], v[158:159]
	v_mul_f64 v[200:201], v[184:185], v[162:163]
	v_fma_f64 v[124:125], v[62:63], v[156:157], -v[164:165]
	v_fma_f64 v[46:47], s[14:15], v[16:17], v[24:25]
	v_fmac_f64_e32 v[24:25], s[4:5], v[16:17]
	v_mul_f64 v[212:213], v[190:191], v[178:179]
	v_fmac_f64_e32 v[82:83], v[126:127], v[156:157]
	v_fma_f64 v[126:127], v[52:53], v[160:161], -v[200:201]
	v_fmac_f64_e32 v[46:47], s[2:3], v[10:11]
	v_fmac_f64_e32 v[24:25], s[16:17], v[10:11]
	v_add_f64 v[10:11], v[18:19], v[124:125]
	v_mul_f64 v[78:79], v[50:51], v[178:179]
	v_fma_f64 v[128:129], v[58:59], v[172:173], -v[202:203]
	v_fma_f64 v[120:121], v[50:51], v[176:177], -v[212:213]
	v_add_f64 v[48:49], v[134:135], -v[132:133]
	v_add_f64 v[50:51], v[136:137], -v[138:139]
	v_add_f64 v[10:11], v[10:11], v[126:127]
	v_add_f64 v[48:49], v[48:49], v[50:51]
	;; [unrolled: 1-line block ×3, first 2 shown]
	v_mul_f64 v[86:87], v[52:53], v[162:163]
	v_fmac_f64_e32 v[92:93], v[188:189], v[176:177]
	v_fmac_f64_e32 v[46:47], s[12:13], v[48:49]
	;; [unrolled: 1-line block ×3, first 2 shown]
	v_add_f64 v[48:49], v[10:11], v[130:131]
	v_add_f64 v[10:11], v[126:127], v[128:129]
	v_mul_f64 v[208:209], v[186:187], v[162:163]
	v_fmac_f64_e32 v[86:87], v[184:185], v[160:161]
	v_fma_f64 v[50:51], -0.5, v[10:11], v[18:19]
	v_add_f64 v[10:11], v[82:83], -v[92:93]
	v_mul_f64 v[72:73], v[54:55], v[162:163]
	v_fma_f64 v[114:115], v[54:55], v[160:161], -v[208:209]
	v_fma_f64 v[52:53], s[4:5], v[10:11], v[50:51]
	v_add_f64 v[16:17], v[86:87], -v[90:91]
	v_add_f64 v[54:55], v[124:125], -v[126:127]
	;; [unrolled: 1-line block ×3, first 2 shown]
	v_fmac_f64_e32 v[50:51], s[14:15], v[10:11]
	v_fmac_f64_e32 v[52:53], s[2:3], v[16:17]
	v_add_f64 v[54:55], v[54:55], v[56:57]
	v_fmac_f64_e32 v[50:51], s[16:17], v[16:17]
	v_fmac_f64_e32 v[52:53], s[12:13], v[54:55]
	;; [unrolled: 1-line block ×3, first 2 shown]
	v_add_f64 v[54:55], v[124:125], v[130:131]
	v_fma_f64 v[54:55], -0.5, v[54:55], v[18:19]
	v_fma_f64 v[56:57], s[14:15], v[16:17], v[54:55]
	v_fmac_f64_e32 v[54:55], s[4:5], v[16:17]
	v_fmac_f64_e32 v[56:57], s[2:3], v[10:11]
	;; [unrolled: 1-line block ×3, first 2 shown]
	v_add_f64 v[10:11], v[20:21], v[14:15]
	v_add_f64 v[10:11], v[10:11], v[114:115]
	v_add_f64 v[18:19], v[126:127], -v[124:125]
	v_add_f64 v[58:59], v[128:129], -v[130:131]
	v_add_f64 v[10:11], v[10:11], v[116:117]
	v_fmac_f64_e32 v[6:7], v[192:193], v[156:157]
	v_fmac_f64_e32 v[78:79], v[190:191], v[176:177]
	v_add_f64 v[18:19], v[18:19], v[58:59]
	v_add_f64 v[58:59], v[10:11], v[120:121]
	;; [unrolled: 1-line block ×3, first 2 shown]
	v_fmac_f64_e32 v[72:73], v[186:187], v[160:161]
	v_fmac_f64_e32 v[74:75], v[196:197], v[172:173]
	v_fma_f64 v[60:61], -0.5, v[10:11], v[20:21]
	v_add_f64 v[10:11], v[6:7], -v[78:79]
	v_fmac_f64_e32 v[56:57], s[12:13], v[18:19]
	v_fmac_f64_e32 v[54:55], s[12:13], v[18:19]
	v_fma_f64 v[62:63], s[4:5], v[10:11], v[60:61]
	v_add_f64 v[16:17], v[72:73], -v[74:75]
	v_add_f64 v[18:19], v[14:15], -v[114:115]
	;; [unrolled: 1-line block ×3, first 2 shown]
	v_fmac_f64_e32 v[60:61], s[14:15], v[10:11]
	v_fmac_f64_e32 v[62:63], s[2:3], v[16:17]
	v_add_f64 v[18:19], v[18:19], v[64:65]
	v_fmac_f64_e32 v[60:61], s[16:17], v[16:17]
	v_fmac_f64_e32 v[62:63], s[12:13], v[18:19]
	;; [unrolled: 1-line block ×3, first 2 shown]
	v_add_f64 v[18:19], v[14:15], v[120:121]
	v_fmac_f64_e32 v[20:21], -0.5, v[18:19]
	v_fma_f64 v[64:65], s[14:15], v[16:17], v[20:21]
	v_fmac_f64_e32 v[20:21], s[4:5], v[16:17]
	v_fmac_f64_e32 v[64:65], s[2:3], v[10:11]
	;; [unrolled: 1-line block ×3, first 2 shown]
	v_add_f64 v[10:11], v[8:9], v[94:95]
	v_add_f64 v[10:11], v[10:11], v[96:97]
	v_add_f64 v[18:19], v[114:115], -v[14:15]
	v_add_f64 v[66:67], v[116:117], -v[120:121]
	v_add_f64 v[10:11], v[10:11], v[100:101]
	v_fmac_f64_e32 v[76:77], v[194:195], v[156:157]
	v_add_f64 v[18:19], v[18:19], v[66:67]
	v_add_f64 v[66:67], v[10:11], v[106:107]
	;; [unrolled: 1-line block ×3, first 2 shown]
	v_fmac_f64_e32 v[80:81], v[180:181], v[160:161]
	v_fmac_f64_e32 v[84:85], v[198:199], v[172:173]
	v_fma_f64 v[10:11], -0.5, v[10:11], v[8:9]
	v_add_f64 v[68:69], v[76:77], -v[88:89]
	v_fmac_f64_e32 v[64:65], s[12:13], v[18:19]
	v_fmac_f64_e32 v[20:21], s[12:13], v[18:19]
	v_fma_f64 v[16:17], s[4:5], v[68:69], v[10:11]
	v_add_f64 v[70:71], v[80:81], -v[84:85]
	v_add_f64 v[18:19], v[94:95], -v[96:97]
	;; [unrolled: 1-line block ×3, first 2 shown]
	v_fmac_f64_e32 v[10:11], s[14:15], v[68:69]
	v_fmac_f64_e32 v[16:17], s[2:3], v[70:71]
	v_add_f64 v[18:19], v[18:19], v[156:157]
	v_fmac_f64_e32 v[10:11], s[16:17], v[70:71]
	v_fmac_f64_e32 v[16:17], s[12:13], v[18:19]
	v_fmac_f64_e32 v[10:11], s[12:13], v[18:19]
	v_add_f64 v[18:19], v[94:95], v[106:107]
	v_fmac_f64_e32 v[8:9], -0.5, v[18:19]
	v_fma_f64 v[18:19], s[14:15], v[70:71], v[8:9]
	v_fmac_f64_e32 v[8:9], s[4:5], v[70:71]
	v_fmac_f64_e32 v[18:19], s[2:3], v[68:69]
	;; [unrolled: 1-line block ×3, first 2 shown]
	v_lshrrev_b32_e32 v68, 3, v166
	v_add_f64 v[2:3], v[2:3], v[142:143]
	v_add_f64 v[156:157], v[96:97], -v[94:95]
	v_add_f64 v[158:159], v[100:101], -v[106:107]
	v_mul_u32_u24_e32 v68, 40, v68
	v_add_f64 v[2:3], v[2:3], v[152:153]
	v_add_f64 v[156:157], v[156:157], v[158:159]
	v_or_b32_e32 v68, v68, v214
	v_add_f64 v[2:3], v[2:3], v[154:155]
	v_fmac_f64_e32 v[18:19], s[12:13], v[156:157]
	v_fmac_f64_e32 v[8:9], s[12:13], v[156:157]
	v_lshl_add_u32 v156, v68, 3, 0
	ds_write2_b64 v156, v[2:3], v[28:29] offset1:8
	ds_write2_b64 v156, v[30:31], v[22:23] offset0:16 offset1:24
	ds_write_b64 v156, v[26:27] offset:256
	v_lshrrev_b32_e32 v2, 3, v168
	v_mul_u32_u24_e32 v2, 40, v2
	v_or_b32_e32 v2, v2, v214
	v_lshl_add_u32 v157, v2, 3, 0
	v_lshrrev_b32_e32 v2, 3, v169
	v_mul_u32_u24_e32 v2, 40, v2
	v_or_b32_e32 v2, v2, v214
	v_lshl_add_u32 v158, v2, 3, 0
	;; [unrolled: 4-line block ×4, first 2 shown]
	ds_write2_b64 v157, v[40:41], v[44:45] offset1:8
	ds_write2_b64 v157, v[46:47], v[24:25] offset0:16 offset1:24
	ds_write_b64 v157, v[42:43] offset:256
	ds_write2_b64 v158, v[48:49], v[52:53] offset1:8
	ds_write2_b64 v158, v[56:57], v[54:55] offset0:16 offset1:24
	ds_write_b64 v158, v[50:51] offset:256
	;; [unrolled: 3-line block ×4, first 2 shown]
	s_waitcnt lgkmcnt(0)
	; wave barrier
	s_waitcnt lgkmcnt(0)
	ds_read2_b64 v[28:31], v167 offset1:56
	ds_read2_b64 v[24:27], v167 offset0:112 offset1:200
	ds_read2_b64 v[68:71], v147 offset0:144 offset1:200
	ds_read2_b64 v[48:51], v144 offset1:88
	ds_read2_b64 v[64:67], v146 offset0:32 offset1:88
	ds_read2_b64 v[40:43], v146 offset0:144 offset1:232
	;; [unrolled: 1-line block ×3, first 2 shown]
	ds_read2_b64 v[56:59], v147 offset1:56
	ds_read2_b64 v[52:55], v144 offset0:144 offset1:200
	ds_read2_b64 v[44:47], v145 offset0:32 offset1:88
	ds_read_b64 v[146:147], v167 offset:10496
                                        ; implicit-def: $vgpr144_vgpr145
	s_and_saveexec_b64 s[18:19], vcc
	s_cbranch_execz .LBB0_37
; %bb.36:
	v_add_u32_e32 v0, 0x400, v167
	ds_read2_b64 v[16:19], v0 offset0:40 offset1:240
	v_add_u32_e32 v0, 0x1100, v167
	ds_read2_b64 v[8:11], v0 offset0:24 offset1:224
	;; [unrolled: 2-line block ×3, first 2 shown]
	ds_read_b64 v[144:145], v167 offset:10944
.LBB0_37:
	s_or_b64 exec, exec, s[18:19]
	v_add_f64 v[20:21], v[32:33], v[110:111]
	v_add_f64 v[20:21], v[20:21], v[112:113]
	;; [unrolled: 1-line block ×5, first 2 shown]
	v_fma_f64 v[164:165], -0.5, v[20:21], v[32:33]
	v_add_f64 v[20:21], v[140:141], -v[154:155]
	v_fma_f64 v[140:141], s[14:15], v[20:21], v[164:165]
	v_add_f64 v[22:23], v[142:143], -v[152:153]
	v_add_f64 v[142:143], v[110:111], -v[112:113]
	;; [unrolled: 1-line block ×3, first 2 shown]
	v_fmac_f64_e32 v[164:165], s[4:5], v[20:21]
	v_fmac_f64_e32 v[140:141], s[16:17], v[22:23]
	v_add_f64 v[142:143], v[142:143], v[152:153]
	v_fmac_f64_e32 v[164:165], s[2:3], v[22:23]
	v_fmac_f64_e32 v[140:141], s[12:13], v[142:143]
	;; [unrolled: 1-line block ×3, first 2 shown]
	v_add_f64 v[142:143], v[110:111], v[122:123]
	v_fma_f64 v[32:33], -0.5, v[142:143], v[32:33]
	v_fma_f64 v[142:143], s[4:5], v[22:23], v[32:33]
	v_fmac_f64_e32 v[32:33], s[14:15], v[22:23]
	v_fmac_f64_e32 v[142:143], s[16:17], v[20:21]
	;; [unrolled: 1-line block ×3, first 2 shown]
	v_add_f64 v[20:21], v[34:35], v[98:99]
	v_add_f64 v[110:111], v[112:113], -v[110:111]
	v_add_f64 v[112:113], v[118:119], -v[122:123]
	v_add_f64 v[20:21], v[20:21], v[102:103]
	v_add_f64 v[110:111], v[110:111], v[112:113]
	;; [unrolled: 1-line block ×3, first 2 shown]
	v_fmac_f64_e32 v[142:143], s[12:13], v[110:111]
	v_fmac_f64_e32 v[32:33], s[12:13], v[110:111]
	v_add_f64 v[110:111], v[20:21], v[108:109]
	v_add_f64 v[20:21], v[102:103], v[104:105]
	v_fma_f64 v[112:113], -0.5, v[20:21], v[34:35]
	v_add_f64 v[20:21], v[132:133], -v[138:139]
	v_fma_f64 v[118:119], s[14:15], v[20:21], v[112:113]
	v_add_f64 v[22:23], v[134:135], -v[136:137]
	v_add_f64 v[122:123], v[98:99], -v[102:103]
	;; [unrolled: 1-line block ×3, first 2 shown]
	v_fmac_f64_e32 v[112:113], s[4:5], v[20:21]
	v_fmac_f64_e32 v[118:119], s[16:17], v[22:23]
	v_add_f64 v[122:123], v[122:123], v[132:133]
	v_fmac_f64_e32 v[112:113], s[2:3], v[22:23]
	v_fmac_f64_e32 v[118:119], s[12:13], v[122:123]
	;; [unrolled: 1-line block ×3, first 2 shown]
	v_add_f64 v[122:123], v[98:99], v[108:109]
	v_fmac_f64_e32 v[34:35], -0.5, v[122:123]
	v_fma_f64 v[122:123], s[4:5], v[22:23], v[34:35]
	v_fmac_f64_e32 v[34:35], s[14:15], v[22:23]
	v_fmac_f64_e32 v[122:123], s[16:17], v[20:21]
	;; [unrolled: 1-line block ×3, first 2 shown]
	v_add_f64 v[20:21], v[36:37], v[82:83]
	v_add_f64 v[98:99], v[102:103], -v[98:99]
	v_add_f64 v[102:103], v[104:105], -v[108:109]
	v_add_f64 v[20:21], v[20:21], v[86:87]
	v_add_f64 v[98:99], v[98:99], v[102:103]
	;; [unrolled: 1-line block ×3, first 2 shown]
	v_fmac_f64_e32 v[122:123], s[12:13], v[98:99]
	v_fmac_f64_e32 v[34:35], s[12:13], v[98:99]
	v_add_f64 v[98:99], v[20:21], v[92:93]
	v_add_f64 v[20:21], v[86:87], v[90:91]
	v_fma_f64 v[102:103], -0.5, v[20:21], v[36:37]
	v_add_f64 v[20:21], v[124:125], -v[130:131]
	v_fma_f64 v[104:105], s[14:15], v[20:21], v[102:103]
	v_add_f64 v[22:23], v[126:127], -v[128:129]
	v_add_f64 v[108:109], v[82:83], -v[86:87]
	;; [unrolled: 1-line block ×3, first 2 shown]
	v_fmac_f64_e32 v[102:103], s[4:5], v[20:21]
	v_fmac_f64_e32 v[104:105], s[16:17], v[22:23]
	v_add_f64 v[108:109], v[108:109], v[124:125]
	v_fmac_f64_e32 v[102:103], s[2:3], v[22:23]
	v_fmac_f64_e32 v[104:105], s[12:13], v[108:109]
	;; [unrolled: 1-line block ×3, first 2 shown]
	v_add_f64 v[108:109], v[82:83], v[92:93]
	v_fma_f64 v[36:37], -0.5, v[108:109], v[36:37]
	v_fma_f64 v[108:109], s[4:5], v[22:23], v[36:37]
	v_fmac_f64_e32 v[36:37], s[14:15], v[22:23]
	v_fmac_f64_e32 v[108:109], s[16:17], v[20:21]
	;; [unrolled: 1-line block ×3, first 2 shown]
	v_add_f64 v[20:21], v[38:39], v[6:7]
	v_add_f64 v[82:83], v[86:87], -v[82:83]
	v_add_f64 v[86:87], v[90:91], -v[92:93]
	v_add_f64 v[20:21], v[20:21], v[72:73]
	v_add_f64 v[82:83], v[82:83], v[86:87]
	;; [unrolled: 1-line block ×3, first 2 shown]
	v_fmac_f64_e32 v[108:109], s[12:13], v[82:83]
	v_fmac_f64_e32 v[36:37], s[12:13], v[82:83]
	v_add_f64 v[82:83], v[20:21], v[78:79]
	v_add_f64 v[20:21], v[72:73], v[74:75]
	v_fma_f64 v[86:87], -0.5, v[20:21], v[38:39]
	v_add_f64 v[14:15], v[14:15], -v[120:121]
	v_fma_f64 v[90:91], s[14:15], v[14:15], v[86:87]
	v_add_f64 v[20:21], v[114:115], -v[116:117]
	v_add_f64 v[22:23], v[6:7], -v[72:73]
	;; [unrolled: 1-line block ×3, first 2 shown]
	v_fmac_f64_e32 v[86:87], s[4:5], v[14:15]
	v_fmac_f64_e32 v[90:91], s[16:17], v[20:21]
	v_add_f64 v[22:23], v[22:23], v[92:93]
	v_fmac_f64_e32 v[86:87], s[2:3], v[20:21]
	v_fmac_f64_e32 v[90:91], s[12:13], v[22:23]
	;; [unrolled: 1-line block ×3, first 2 shown]
	v_add_f64 v[22:23], v[6:7], v[78:79]
	v_fmac_f64_e32 v[38:39], -0.5, v[22:23]
	v_fma_f64 v[92:93], s[4:5], v[20:21], v[38:39]
	v_fmac_f64_e32 v[38:39], s[14:15], v[20:21]
	v_fmac_f64_e32 v[92:93], s[16:17], v[14:15]
	;; [unrolled: 1-line block ×3, first 2 shown]
	v_add_f64 v[14:15], v[80:81], v[84:85]
	v_add_f64 v[6:7], v[72:73], -v[6:7]
	v_add_f64 v[22:23], v[74:75], -v[78:79]
	v_fma_f64 v[14:15], -0.5, v[14:15], v[12:13]
	v_add_f64 v[72:73], v[94:95], -v[106:107]
	v_add_f64 v[6:7], v[6:7], v[22:23]
	v_fma_f64 v[20:21], s[14:15], v[72:73], v[14:15]
	v_add_f64 v[74:75], v[96:97], -v[100:101]
	v_add_f64 v[22:23], v[76:77], -v[80:81]
	;; [unrolled: 1-line block ×3, first 2 shown]
	v_fmac_f64_e32 v[14:15], s[4:5], v[72:73]
	v_fmac_f64_e32 v[20:21], s[16:17], v[74:75]
	v_add_f64 v[22:23], v[22:23], v[78:79]
	v_fmac_f64_e32 v[14:15], s[2:3], v[74:75]
	v_fmac_f64_e32 v[92:93], s[12:13], v[6:7]
	;; [unrolled: 1-line block ×3, first 2 shown]
	v_add_f64 v[6:7], v[12:13], v[76:77]
	v_fmac_f64_e32 v[20:21], s[12:13], v[22:23]
	v_fmac_f64_e32 v[14:15], s[12:13], v[22:23]
	v_add_f64 v[22:23], v[76:77], v[88:89]
	v_add_f64 v[6:7], v[6:7], v[80:81]
	v_fmac_f64_e32 v[12:13], -0.5, v[22:23]
	v_add_f64 v[6:7], v[6:7], v[84:85]
	v_fma_f64 v[22:23], s[4:5], v[74:75], v[12:13]
	v_add_f64 v[76:77], v[80:81], -v[76:77]
	v_add_f64 v[78:79], v[84:85], -v[88:89]
	v_fmac_f64_e32 v[12:13], s[14:15], v[74:75]
	v_add_f64 v[6:7], v[6:7], v[88:89]
	v_fmac_f64_e32 v[22:23], s[16:17], v[72:73]
	v_add_f64 v[76:77], v[76:77], v[78:79]
	v_fmac_f64_e32 v[12:13], s[2:3], v[72:73]
	v_fmac_f64_e32 v[22:23], s[12:13], v[76:77]
	v_fmac_f64_e32 v[12:13], s[12:13], v[76:77]
	s_waitcnt lgkmcnt(0)
	; wave barrier
	s_waitcnt lgkmcnt(0)
	ds_write2_b64 v156, v[162:163], v[140:141] offset1:8
	ds_write2_b64 v156, v[142:143], v[32:33] offset0:16 offset1:24
	ds_write_b64 v156, v[164:165] offset:256
	ds_write2_b64 v157, v[110:111], v[118:119] offset1:8
	ds_write2_b64 v157, v[122:123], v[34:35] offset0:16 offset1:24
	ds_write_b64 v157, v[112:113] offset:256
	;; [unrolled: 3-line block ×5, first 2 shown]
	v_add_u32_e32 v6, 0x800, v167
	v_add_u32_e32 v7, 0x1000, v167
	;; [unrolled: 1-line block ×4, first 2 shown]
	s_waitcnt lgkmcnt(0)
	; wave barrier
	s_waitcnt lgkmcnt(0)
	ds_read2_b64 v[36:39], v167 offset1:56
	ds_read2_b64 v[32:35], v167 offset0:112 offset1:200
	ds_read2_b64 v[100:103], v6 offset0:144 offset1:200
	ds_read2_b64 v[80:83], v7 offset1:88
	ds_read2_b64 v[96:99], v72 offset0:32 offset1:88
	ds_read2_b64 v[72:75], v72 offset0:144 offset1:232
	;; [unrolled: 1-line block ×3, first 2 shown]
	ds_read2_b64 v[88:91], v6 offset1:56
	ds_read2_b64 v[84:87], v7 offset0:144 offset1:200
	ds_read2_b64 v[76:79], v76 offset0:32 offset1:88
	ds_read_b64 v[154:155], v167 offset:10496
                                        ; implicit-def: $vgpr152_vgpr153
	s_and_saveexec_b64 s[2:3], vcc
	s_cbranch_execz .LBB0_39
; %bb.38:
	v_add_u32_e32 v4, 0x400, v167
	ds_read2_b64 v[20:23], v4 offset0:40 offset1:240
	v_add_u32_e32 v4, 0x1100, v167
	ds_read2_b64 v[12:15], v4 offset0:24 offset1:224
	;; [unrolled: 2-line block ×3, first 2 shown]
	ds_read_b64 v[152:153], v167 offset:10944
.LBB0_39:
	s_or_b64 exec, exec, s[2:3]
	v_subrev_u32_e32 v104, 40, v166
	v_cmp_gt_u32_e64 s[2:3], 40, v166
	v_mov_b32_e32 v156, 6
	v_mov_b32_e32 v105, 0
	v_cndmask_b32_e64 v172, v104, v166, s[2:3]
	s_movk_i32 s2, 0xcd
	v_mul_lo_u16_sdwa v128, v168, s2 dst_sel:DWORD dst_unused:UNUSED_PAD src0_sel:BYTE_0 src1_sel:DWORD
	v_lshrrev_b16_e32 v173, 13, v128
	v_mul_lo_u16_e32 v128, 40, v173
	v_sub_u16_e32 v174, v168, v128
	v_mul_i32_i24_e32 v104, 6, v172
	v_mul_u32_u24_sdwa v128, v174, v156 dst_sel:DWORD dst_unused:UNUSED_PAD src0_sel:BYTE_0 src1_sel:DWORD
	v_lshl_add_u64 v[120:121], v[104:105], 4, s[8:9]
	v_lshlrev_b32_e32 v157, 4, v128
	global_load_dwordx4 v[116:119], v[120:121], off offset:608
	global_load_dwordx4 v[112:115], v[120:121], off offset:624
	;; [unrolled: 1-line block ×5, first 2 shown]
	s_nop 0
	global_load_dwordx4 v[120:123], v[120:121], off offset:688
	s_nop 0
	global_load_dwordx4 v[140:143], v157, s[8:9] offset:608
	global_load_dwordx4 v[136:139], v157, s[8:9] offset:624
	;; [unrolled: 1-line block ×6, first 2 shown]
	v_mul_lo_u16_sdwa v157, v169, s2 dst_sel:DWORD dst_unused:UNUSED_PAD src0_sel:BYTE_0 src1_sel:DWORD
	v_lshrrev_b16_e32 v175, 13, v157
	v_mul_lo_u16_e32 v157, 40, v175
	v_sub_u16_e32 v236, v169, v157
	v_mul_u32_u24_sdwa v156, v236, v156 dst_sel:DWORD dst_unused:UNUSED_PAD src0_sel:BYTE_0 src1_sel:DWORD
	v_lshlrev_b32_e32 v156, 4, v156
	global_load_dwordx4 v[184:187], v156, s[8:9] offset:608
	global_load_dwordx4 v[188:191], v156, s[8:9] offset:624
	;; [unrolled: 1-line block ×6, first 2 shown]
	v_mul_lo_u16_sdwa v156, v170, s2 dst_sel:DWORD dst_unused:UNUSED_PAD src0_sel:BYTE_0 src1_sel:DWORD
	v_lshrrev_b16_e32 v156, 13, v156
	v_mul_lo_u16_e32 v156, 40, v156
	v_sub_u16_e32 v156, v170, v156
	v_and_b32_e32 v237, 0xff, v156
	v_mul_u32_u24_e32 v156, 6, v237
	v_lshlrev_b32_e32 v156, 4, v156
	global_load_dwordx4 v[208:211], v156, s[8:9] offset:608
	global_load_dwordx4 v[212:215], v156, s[8:9] offset:624
	;; [unrolled: 1-line block ×6, first 2 shown]
	s_mov_b32 s12, 0x37e14327
	s_mov_b32 s4, 0x36b3c0b5
	;; [unrolled: 1-line block ×20, first 2 shown]
	v_cmp_lt_u32_e64 s[2:3], 39, v166
	s_waitcnt lgkmcnt(0)
	; wave barrier
	s_waitcnt vmcnt(23) lgkmcnt(0)
	v_mul_f64 v[158:159], v[34:35], v[118:119]
	v_mul_f64 v[118:119], v[26:27], v[118:119]
	s_waitcnt vmcnt(22)
	v_mul_f64 v[162:163], v[100:101], v[114:115]
	v_mul_f64 v[114:115], v[68:69], v[114:115]
	s_waitcnt vmcnt(20)
	;; [unrolled: 3-line block ×3, first 2 shown]
	v_mul_f64 v[234:235], v[92:93], v[122:123]
	v_mul_f64 v[160:161], v[60:61], v[122:123]
	v_fma_f64 v[122:123], v[26:27], v[116:117], -v[158:159]
	s_waitcnt vmcnt(17)
	v_mul_f64 v[26:27], v[88:89], v[142:143]
	v_mul_f64 v[164:165], v[82:83], v[110:111]
	v_fmac_f64_e32 v[118:119], v[34:35], v[116:117]
	v_fma_f64 v[116:117], v[68:69], v[112:113], -v[162:163]
	v_fmac_f64_e32 v[114:115], v[100:101], v[112:113]
	v_fma_f64 v[162:163], v[64:65], v[104:105], -v[232:233]
	;; [unrolled: 2-line block ×3, first 2 shown]
	s_waitcnt vmcnt(14)
	v_mul_f64 v[104:105], v[66:67], v[130:131]
	s_waitcnt vmcnt(13)
	v_mul_f64 v[26:27], v[76:77], v[178:179]
	v_mul_f64 v[110:111], v[50:51], v[110:111]
	;; [unrolled: 1-line block ×3, first 2 shown]
	v_fma_f64 v[158:159], v[50:51], v[108:109], -v[164:165]
	v_mul_f64 v[50:51], v[98:99], v[130:131]
	v_fmac_f64_e32 v[104:105], v[98:99], v[128:129]
	v_fma_f64 v[98:99], v[44:45], v[176:177], -v[26:27]
	s_waitcnt vmcnt(12)
	v_mul_f64 v[26:27], v[94:95], v[182:183]
	v_mul_f64 v[126:127], v[42:43], v[126:127]
	v_fmac_f64_e32 v[110:111], v[82:83], v[108:109]
	v_fma_f64 v[164:165], v[42:43], v[124:125], -v[106:107]
	v_fmac_f64_e32 v[160:161], v[92:93], v[120:121]
	v_mul_f64 v[92:93], v[70:71], v[138:139]
	v_mul_f64 v[42:43], v[84:85], v[134:135]
	v_fma_f64 v[108:109], v[62:63], v[180:181], -v[26:27]
	s_waitcnt vmcnt(11)
	v_mul_f64 v[26:27], v[90:91], v[186:187]
	v_mul_f64 v[34:35], v[102:103], v[138:139]
	v_fmac_f64_e32 v[92:93], v[102:103], v[136:137]
	v_fma_f64 v[102:103], v[52:53], v[132:133], -v[42:43]
	v_fma_f64 v[42:43], v[58:59], v[184:185], -v[26:27]
	s_waitcnt vmcnt(10)
	v_mul_f64 v[26:27], v[80:81], v[190:191]
	v_mul_f64 v[82:83], v[56:57], v[142:143]
	;; [unrolled: 1-line block ×3, first 2 shown]
	v_fma_f64 v[58:59], v[48:49], v[188:189], -v[26:27]
	s_waitcnt vmcnt(9)
	v_mul_f64 v[26:27], v[86:87], v[194:195]
	v_mul_f64 v[112:113], v[62:63], v[182:183]
	v_fma_f64 v[62:63], v[54:55], v[192:193], -v[26:27]
	s_waitcnt vmcnt(8)
	v_mul_f64 v[26:27], v[72:73], v[198:199]
	v_mul_f64 v[96:97], v[52:53], v[134:135]
	v_fma_f64 v[64:65], v[40:41], v[196:197], -v[26:27]
	s_waitcnt vmcnt(6)
	v_mul_f64 v[26:27], v[78:79], v[206:207]
	v_fmac_f64_e32 v[96:97], v[84:85], v[132:133]
	v_fma_f64 v[84:85], v[66:67], v[128:129], -v[50:51]
	v_fma_f64 v[66:67], v[46:47], v[204:205], -v[26:27]
	v_mul_f64 v[26:27], v[154:155], v[202:203]
	v_fmac_f64_e32 v[82:83], v[88:89], v[140:141]
	v_fma_f64 v[88:89], v[70:71], v[136:137], -v[34:35]
	v_fma_f64 v[70:71], v[146:147], v[200:201], -v[26:27]
	s_waitcnt vmcnt(5)
	v_mul_f64 v[26:27], v[22:23], v[210:211]
	v_fma_f64 v[26:27], v[18:19], v[208:209], -v[26:27]
	v_mul_f64 v[34:35], v[18:19], v[210:211]
	s_waitcnt vmcnt(4)
	v_mul_f64 v[18:19], v[12:13], v[214:215]
	v_mul_f64 v[106:107], v[44:45], v[178:179]
	v_fmac_f64_e32 v[34:35], v[22:23], v[208:209]
	v_fma_f64 v[22:23], v[8:9], v[212:213], -v[18:19]
	v_mul_f64 v[44:45], v[8:9], v[214:215]
	s_waitcnt vmcnt(2)
	v_mul_f64 v[8:9], v[14:15], v[222:223]
	v_mul_f64 v[68:69], v[46:47], v[206:207]
	v_fma_f64 v[46:47], v[10:11], v[220:221], -v[8:9]
	v_mul_f64 v[8:9], v[4:5], v[218:219]
	v_fma_f64 v[50:51], v[0:1], v[216:217], -v[8:9]
	v_mul_f64 v[52:53], v[0:1], v[218:219]
	s_waitcnt vmcnt(0)
	v_mul_f64 v[0:1], v[6:7], v[230:231]
	v_fmac_f64_e32 v[126:127], v[74:75], v[124:125]
	v_fma_f64 v[124:125], v[60:61], v[120:121], -v[234:235]
	v_fma_f64 v[74:75], v[2:3], v[228:229], -v[0:1]
	v_mul_f64 v[0:1], v[152:153], v[226:227]
	v_fmac_f64_e32 v[106:107], v[76:77], v[176:177]
	v_fmac_f64_e32 v[68:69], v[78:79], v[204:205]
	;; [unrolled: 1-line block ×3, first 2 shown]
	v_mul_f64 v[76:77], v[2:3], v[230:231]
	v_fma_f64 v[78:79], v[144:145], v[224:225], -v[0:1]
	v_add_f64 v[0:1], v[122:123], v[124:125]
	v_add_f64 v[4:5], v[116:117], v[164:165]
	v_mul_f64 v[60:61], v[48:49], v[190:191]
	v_mul_f64 v[54:55], v[54:55], v[194:195]
	v_fmac_f64_e32 v[44:45], v[12:13], v[212:213]
	v_mul_f64 v[48:49], v[10:11], v[222:223]
	v_fmac_f64_e32 v[76:77], v[6:7], v[228:229]
	v_add_f64 v[2:3], v[118:119], -v[160:161]
	v_add_f64 v[6:7], v[114:115], -v[126:127]
	v_add_f64 v[8:9], v[158:159], v[162:163]
	v_add_f64 v[10:11], v[156:157], -v[110:111]
	v_add_f64 v[12:13], v[4:5], v[0:1]
	v_fmac_f64_e32 v[54:55], v[86:87], v[192:193]
	v_fmac_f64_e32 v[48:49], v[14:15], v[220:221]
	v_add_f64 v[14:15], v[4:5], -v[0:1]
	v_add_f64 v[0:1], v[0:1], -v[8:9]
	;; [unrolled: 1-line block ×3, first 2 shown]
	v_add_f64 v[18:19], v[10:11], v[6:7]
	v_add_f64 v[86:87], v[10:11], -v[6:7]
	v_add_f64 v[6:7], v[6:7], -v[2:3]
	v_add_f64 v[8:9], v[8:9], v[12:13]
	v_add_f64 v[10:11], v[2:3], -v[10:11]
	v_add_f64 v[2:3], v[18:19], v[2:3]
	v_add_f64 v[12:13], v[28:29], v[8:9]
	v_mul_f64 v[0:1], v[0:1], s[12:13]
	v_mul_f64 v[18:19], v[4:5], s[4:5]
	v_mul_f64 v[28:29], v[86:87], s[16:17]
	v_mul_f64 v[86:87], v[6:7], s[14:15]
	v_fma_f64 v[8:9], s[18:19], v[8:9], v[12:13]
	v_fma_f64 v[18:19], v[14:15], s[20:21], -v[18:19]
	v_fma_f64 v[14:15], v[14:15], s[22:23], -v[0:1]
	v_fmac_f64_e32 v[0:1], s[4:5], v[4:5]
	v_fma_f64 v[4:5], v[6:7], s[14:15], -v[28:29]
	v_fmac_f64_e32 v[28:29], s[24:25], v[10:11]
	v_fma_f64 v[6:7], v[10:11], s[28:29], -v[86:87]
	v_add_f64 v[0:1], v[0:1], v[8:9]
	v_add_f64 v[10:11], v[18:19], v[8:9]
	;; [unrolled: 1-line block ×3, first 2 shown]
	v_fmac_f64_e32 v[28:29], s[26:27], v[2:3]
	v_fmac_f64_e32 v[6:7], s[26:27], v[2:3]
	;; [unrolled: 1-line block ×4, first 2 shown]
	v_add_f64 v[2:3], v[28:29], v[0:1]
	v_add_f64 v[14:15], v[6:7], v[8:9]
	v_add_f64 v[6:7], v[8:9], -v[6:7]
	v_add_f64 v[0:1], v[0:1], -v[28:29]
	v_add_f64 v[8:9], v[100:101], v[108:109]
	v_add_f64 v[28:29], v[88:89], v[98:99]
	v_fmac_f64_e32 v[56:57], v[90:91], v[184:185]
	v_add_f64 v[18:19], v[10:11], -v[4:5]
	v_add_f64 v[4:5], v[4:5], v[10:11]
	v_add_f64 v[10:11], v[82:83], -v[112:113]
	v_add_f64 v[86:87], v[92:93], -v[106:107]
	v_add_f64 v[90:91], v[102:103], v[84:85]
	v_add_f64 v[94:95], v[104:105], -v[96:97]
	v_add_f64 v[120:121], v[28:29], v[8:9]
	v_add_f64 v[128:129], v[28:29], -v[8:9]
	v_add_f64 v[8:9], v[8:9], -v[90:91]
	;; [unrolled: 1-line block ×3, first 2 shown]
	v_add_f64 v[130:131], v[94:95], v[86:87]
	v_add_f64 v[132:133], v[94:95], -v[86:87]
	v_add_f64 v[86:87], v[86:87], -v[10:11]
	v_add_f64 v[90:91], v[90:91], v[120:121]
	v_add_f64 v[94:95], v[10:11], -v[94:95]
	v_add_f64 v[10:11], v[130:131], v[10:11]
	v_add_f64 v[120:121], v[30:31], v[90:91]
	v_mul_f64 v[8:9], v[8:9], s[12:13]
	v_mul_f64 v[30:31], v[28:29], s[4:5]
	;; [unrolled: 1-line block ×5, first 2 shown]
	v_fma_f64 v[90:91], s[18:19], v[90:91], v[120:121]
	v_fma_f64 v[30:31], v[128:129], s[20:21], -v[30:31]
	v_fma_f64 v[128:129], v[128:129], s[22:23], -v[8:9]
	v_fmac_f64_e32 v[8:9], s[4:5], v[28:29]
	v_fma_f64 v[28:29], v[86:87], s[14:15], -v[130:131]
	v_fma_f64 v[86:87], v[94:95], s[28:29], -v[132:133]
	v_fmac_f64_e32 v[40:41], v[72:73], v[196:197]
	v_mul_f64 v[72:73], v[146:147], v[202:203]
	v_fmac_f64_e32 v[130:131], s[24:25], v[94:95]
	v_add_f64 v[8:9], v[8:9], v[90:91]
	v_add_f64 v[30:31], v[30:31], v[90:91]
	;; [unrolled: 1-line block ×3, first 2 shown]
	v_fmac_f64_e32 v[28:29], s[26:27], v[10:11]
	v_fmac_f64_e32 v[86:87], s[26:27], v[10:11]
	;; [unrolled: 1-line block ×5, first 2 shown]
	v_add_f64 v[94:95], v[86:87], v[90:91]
	v_add_f64 v[128:129], v[30:31], -v[28:29]
	v_add_f64 v[132:133], v[28:29], v[30:31]
	v_add_f64 v[86:87], v[90:91], -v[86:87]
	v_add_f64 v[28:29], v[42:43], v[70:71]
	v_add_f64 v[90:91], v[58:59], v[66:67]
	;; [unrolled: 1-line block ×3, first 2 shown]
	v_add_f64 v[8:9], v[8:9], -v[130:131]
	v_add_f64 v[30:31], v[56:57], -v[72:73]
	;; [unrolled: 1-line block ×3, first 2 shown]
	v_add_f64 v[134:135], v[62:63], v[64:65]
	v_add_f64 v[136:137], v[40:41], -v[54:55]
	v_add_f64 v[138:139], v[90:91], v[28:29]
	v_mul_f64 v[80:81], v[144:145], v[226:227]
	v_add_f64 v[140:141], v[90:91], -v[28:29]
	v_add_f64 v[28:29], v[28:29], -v[134:135]
	;; [unrolled: 1-line block ×3, first 2 shown]
	v_add_f64 v[142:143], v[136:137], v[130:131]
	v_add_f64 v[144:145], v[136:137], -v[130:131]
	v_add_f64 v[130:131], v[130:131], -v[30:31]
	v_add_f64 v[134:135], v[134:135], v[138:139]
	v_add_f64 v[136:137], v[30:31], -v[136:137]
	v_add_f64 v[30:31], v[142:143], v[30:31]
	v_add_f64 v[24:25], v[24:25], v[134:135]
	v_mul_f64 v[28:29], v[28:29], s[12:13]
	v_mul_f64 v[138:139], v[90:91], s[4:5]
	;; [unrolled: 1-line block ×4, first 2 shown]
	v_fma_f64 v[134:135], s[18:19], v[134:135], v[24:25]
	v_fma_f64 v[138:139], v[140:141], s[20:21], -v[138:139]
	v_fma_f64 v[140:141], v[140:141], s[22:23], -v[28:29]
	v_fmac_f64_e32 v[28:29], s[4:5], v[90:91]
	v_fma_f64 v[90:91], v[130:131], s[14:15], -v[142:143]
	v_fmac_f64_e32 v[142:143], s[24:25], v[136:137]
	v_fma_f64 v[130:131], v[136:137], s[28:29], -v[144:145]
	v_add_f64 v[28:29], v[28:29], v[134:135]
	v_add_f64 v[136:137], v[138:139], v[134:135]
	v_add_f64 v[134:135], v[140:141], v[134:135]
	v_fmac_f64_e32 v[142:143], s[26:27], v[30:31]
	v_fmac_f64_e32 v[130:131], s[26:27], v[30:31]
	v_add_f64 v[138:139], v[142:143], v[28:29]
	v_add_f64 v[140:141], v[130:131], v[134:135]
	v_add_f64 v[130:131], v[134:135], -v[130:131]
	v_add_f64 v[134:135], v[28:29], -v[142:143]
	v_mov_b32_e32 v28, 0x8c0
	v_cndmask_b32_e64 v28, 0, v28, s[2:3]
	v_lshlrev_b32_e32 v29, 3, v172
	v_add3_u32 v29, 0, v28, v29
	ds_write2_b64 v29, v[12:13], v[2:3] offset1:40
	ds_write2_b64 v29, v[14:15], v[18:19] offset0:80 offset1:120
	ds_write2_b64 v29, v[4:5], v[6:7] offset0:160 offset1:200
	ds_write_b64 v29, v[0:1] offset:1920
	v_mov_b32_e32 v1, 3
	v_mul_u32_u24_e32 v0, 0x8c0, v173
	v_lshlrev_b32_sdwa v2, v1, v174 dst_sel:DWORD dst_unused:UNUSED_PAD src0_sel:DWORD src1_sel:BYTE_0
	v_fmac_f64_e32 v[90:91], s[26:27], v[30:31]
	v_add3_u32 v30, 0, v0, v2
	v_mul_u32_u24_e32 v0, 0x8c0, v175
	v_lshlrev_b32_sdwa v1, v1, v236 dst_sel:DWORD dst_unused:UNUSED_PAD src0_sel:DWORD src1_sel:BYTE_0
	v_fmac_f64_e32 v[80:81], v[152:153], v[224:225]
	v_add3_u32 v31, 0, v0, v1
	v_lshl_add_u32 v28, v237, 3, 0
	v_add_f64 v[144:145], v[136:137], -v[90:91]
	v_add_f64 v[90:91], v[90:91], v[136:137]
	ds_write2_b64 v30, v[120:121], v[10:11] offset1:40
	ds_write2_b64 v30, v[94:95], v[128:129] offset0:80 offset1:120
	ds_write2_b64 v30, v[132:133], v[86:87] offset0:160 offset1:200
	ds_write_b64 v30, v[8:9] offset:1920
	ds_write2_b64 v31, v[24:25], v[138:139] offset1:40
	ds_write2_b64 v31, v[140:141], v[144:145] offset0:80 offset1:120
	ds_write2_b64 v31, v[90:91], v[130:131] offset0:160 offset1:200
	ds_write_b64 v31, v[134:135] offset:1920
	s_and_saveexec_b64 s[2:3], vcc
	s_cbranch_execz .LBB0_41
; %bb.40:
	v_add_f64 v[0:1], v[26:27], v[78:79]
	v_add_f64 v[2:3], v[22:23], v[74:75]
	;; [unrolled: 1-line block ×6, first 2 shown]
	v_add_f64 v[10:11], v[0:1], -v[6:7]
	v_add_f64 v[6:7], v[6:7], -v[2:3]
	;; [unrolled: 1-line block ×4, first 2 shown]
	v_mul_f64 v[10:11], v[10:11], s[12:13]
	v_mul_f64 v[12:13], v[6:7], s[4:5]
	v_add_f64 v[14:15], v[34:35], -v[80:81]
	v_add_f64 v[86:87], v[16:17], -v[24:25]
	;; [unrolled: 1-line block ×3, first 2 shown]
	v_fma_f64 v[4:5], s[18:19], v[4:5], v[8:9]
	v_fma_f64 v[6:7], s[4:5], v[6:7], v[10:11]
	v_add_f64 v[18:19], v[14:15], -v[16:17]
	v_mul_f64 v[86:87], v[86:87], s[16:17]
	v_add_f64 v[16:17], v[16:17], v[24:25]
	v_fma_f64 v[2:3], v[0:1], s[22:23], -v[10:11]
	v_add_f64 v[10:11], v[24:25], -v[14:15]
	v_fma_f64 v[0:1], v[0:1], s[20:21], -v[12:13]
	v_add_f64 v[6:7], v[6:7], v[4:5]
	v_fma_f64 v[90:91], s[24:25], v[18:19], v[86:87]
	v_add_f64 v[16:17], v[16:17], v[14:15]
	v_add_f64 v[2:3], v[2:3], v[4:5]
	v_mul_f64 v[14:15], v[10:11], s[14:15]
	v_add_f64 v[0:1], v[0:1], v[4:5]
	v_fma_f64 v[4:5], v[10:11], s[14:15], -v[86:87]
	v_fmac_f64_e32 v[90:91], s[26:27], v[16:17]
	v_fma_f64 v[14:15], v[18:19], s[28:29], -v[14:15]
	v_fmac_f64_e32 v[4:5], s[26:27], v[16:17]
	v_add_f64 v[94:95], v[6:7], -v[90:91]
	v_fmac_f64_e32 v[14:15], s[26:27], v[16:17]
	v_add_f64 v[10:11], v[4:5], v[0:1]
	v_add_f64 v[0:1], v[0:1], -v[4:5]
	v_add_f64 v[4:5], v[90:91], v[6:7]
	v_add_u32_e32 v6, 0x2000, v28
	v_add_f64 v[18:19], v[2:3], -v[14:15]
	v_add_f64 v[2:3], v[14:15], v[2:3]
	ds_write2_b64 v6, v[8:9], v[4:5] offset0:96 offset1:136
	ds_write2_b64 v6, v[2:3], v[0:1] offset0:176 offset1:216
	v_add_u32_e32 v0, 0x2800, v28
	ds_write2_b64 v0, v[10:11], v[18:19] offset1:40
	ds_write_b64 v28, v[94:95] offset:10880
.LBB0_41:
	s_or_b64 exec, exec, s[2:3]
	v_add_f64 v[0:1], v[118:119], v[160:161]
	v_add_f64 v[4:5], v[114:115], v[126:127]
	v_add_f64 v[6:7], v[116:117], -v[164:165]
	v_add_f64 v[8:9], v[110:111], v[156:157]
	v_add_f64 v[10:11], v[162:163], -v[158:159]
	;; [unrolled: 2-line block ×3, first 2 shown]
	v_add_f64 v[14:15], v[4:5], -v[0:1]
	v_add_f64 v[0:1], v[0:1], -v[8:9]
	;; [unrolled: 1-line block ×3, first 2 shown]
	v_add_f64 v[16:17], v[10:11], v[6:7]
	v_add_f64 v[18:19], v[10:11], -v[6:7]
	v_add_f64 v[8:9], v[8:9], v[12:13]
	v_add_f64 v[10:11], v[2:3], -v[10:11]
	v_add_f64 v[6:7], v[6:7], -v[2:3]
	v_add_f64 v[2:3], v[16:17], v[2:3]
	v_add_f64 v[86:87], v[36:37], v[8:9]
	v_mul_f64 v[0:1], v[0:1], s[12:13]
	v_mul_f64 v[12:13], v[4:5], s[4:5]
	;; [unrolled: 1-line block ×4, first 2 shown]
	v_fma_f64 v[8:9], s[18:19], v[8:9], v[86:87]
	v_fma_f64 v[12:13], v[14:15], s[20:21], -v[12:13]
	v_fma_f64 v[14:15], v[14:15], s[22:23], -v[0:1]
	v_fmac_f64_e32 v[0:1], s[4:5], v[4:5]
	v_fma_f64 v[4:5], v[6:7], s[14:15], -v[16:17]
	v_fmac_f64_e32 v[16:17], s[24:25], v[10:11]
	v_fma_f64 v[6:7], v[10:11], s[28:29], -v[18:19]
	v_add_f64 v[0:1], v[0:1], v[8:9]
	v_add_f64 v[10:11], v[12:13], v[8:9]
	v_fmac_f64_e32 v[16:17], s[26:27], v[2:3]
	v_fmac_f64_e32 v[4:5], s[26:27], v[2:3]
	v_add_f64 v[8:9], v[14:15], v[8:9]
	v_fmac_f64_e32 v[6:7], s[26:27], v[2:3]
	v_add_f64 v[90:91], v[0:1], -v[16:17]
	v_add_f64 v[110:111], v[4:5], v[10:11]
	v_add_f64 v[114:115], v[10:11], -v[4:5]
	v_add_f64 v[118:119], v[16:17], v[0:1]
	v_add_f64 v[0:1], v[82:83], v[112:113]
	;; [unrolled: 1-line block ×3, first 2 shown]
	v_add_f64 v[94:95], v[8:9], -v[6:7]
	v_add_f64 v[116:117], v[6:7], v[8:9]
	v_add_f64 v[6:7], v[88:89], -v[98:99]
	v_add_f64 v[8:9], v[96:97], v[104:105]
	;; [unrolled: 2-line block ×3, first 2 shown]
	v_add_f64 v[2:3], v[100:101], -v[108:109]
	v_add_f64 v[14:15], v[4:5], -v[0:1]
	;; [unrolled: 1-line block ×4, first 2 shown]
	v_add_f64 v[16:17], v[10:11], v[6:7]
	v_add_f64 v[18:19], v[10:11], -v[6:7]
	v_add_f64 v[8:9], v[8:9], v[12:13]
	v_add_f64 v[10:11], v[2:3], -v[10:11]
	v_add_f64 v[6:7], v[6:7], -v[2:3]
	v_add_f64 v[2:3], v[16:17], v[2:3]
	v_add_f64 v[82:83], v[38:39], v[8:9]
	v_mul_f64 v[0:1], v[0:1], s[12:13]
	v_mul_f64 v[12:13], v[4:5], s[4:5]
	;; [unrolled: 1-line block ×4, first 2 shown]
	v_fma_f64 v[8:9], s[18:19], v[8:9], v[82:83]
	v_fma_f64 v[12:13], v[14:15], s[20:21], -v[12:13]
	v_fma_f64 v[14:15], v[14:15], s[22:23], -v[0:1]
	v_fmac_f64_e32 v[0:1], s[4:5], v[4:5]
	v_fma_f64 v[4:5], v[6:7], s[14:15], -v[16:17]
	v_fmac_f64_e32 v[16:17], s[24:25], v[10:11]
	v_fma_f64 v[6:7], v[10:11], s[28:29], -v[18:19]
	v_add_f64 v[0:1], v[0:1], v[8:9]
	v_add_f64 v[10:11], v[12:13], v[8:9]
	v_fmac_f64_e32 v[16:17], s[26:27], v[2:3]
	v_fmac_f64_e32 v[4:5], s[26:27], v[2:3]
	v_add_f64 v[8:9], v[14:15], v[8:9]
	v_fmac_f64_e32 v[6:7], s[26:27], v[2:3]
	v_add_f64 v[84:85], v[0:1], -v[16:17]
	v_add_f64 v[92:93], v[4:5], v[10:11]
	v_add_f64 v[96:97], v[10:11], -v[4:5]
	v_add_f64 v[100:101], v[16:17], v[0:1]
	v_add_f64 v[0:1], v[56:57], v[72:73]
	;; [unrolled: 1-line block ×3, first 2 shown]
	v_add_f64 v[88:89], v[8:9], -v[6:7]
	v_add_f64 v[98:99], v[6:7], v[8:9]
	v_add_f64 v[6:7], v[58:59], -v[66:67]
	v_add_f64 v[8:9], v[54:55], v[40:41]
	;; [unrolled: 2-line block ×3, first 2 shown]
	v_add_f64 v[2:3], v[42:43], -v[70:71]
	v_add_f64 v[14:15], v[4:5], -v[0:1]
	v_add_f64 v[0:1], v[0:1], -v[8:9]
	v_add_f64 v[4:5], v[8:9], -v[4:5]
	v_add_f64 v[16:17], v[10:11], v[6:7]
	v_add_f64 v[18:19], v[10:11], -v[6:7]
	v_add_f64 v[8:9], v[8:9], v[12:13]
	v_add_f64 v[10:11], v[2:3], -v[10:11]
	v_add_f64 v[6:7], v[6:7], -v[2:3]
	v_add_f64 v[2:3], v[16:17], v[2:3]
	v_add_f64 v[32:33], v[32:33], v[8:9]
	v_mul_f64 v[0:1], v[0:1], s[12:13]
	v_mul_f64 v[12:13], v[4:5], s[4:5]
	;; [unrolled: 1-line block ×4, first 2 shown]
	v_fma_f64 v[8:9], s[18:19], v[8:9], v[32:33]
	v_fma_f64 v[12:13], v[14:15], s[20:21], -v[12:13]
	v_fma_f64 v[14:15], v[14:15], s[22:23], -v[0:1]
	v_fmac_f64_e32 v[0:1], s[4:5], v[4:5]
	v_fma_f64 v[4:5], v[6:7], s[14:15], -v[16:17]
	v_fmac_f64_e32 v[16:17], s[24:25], v[10:11]
	v_fma_f64 v[6:7], v[10:11], s[28:29], -v[18:19]
	v_add_f64 v[0:1], v[0:1], v[8:9]
	v_add_f64 v[10:11], v[12:13], v[8:9]
	v_fmac_f64_e32 v[16:17], s[26:27], v[2:3]
	v_fmac_f64_e32 v[4:5], s[26:27], v[2:3]
	v_add_f64 v[8:9], v[14:15], v[8:9]
	v_fmac_f64_e32 v[6:7], s[26:27], v[2:3]
	v_add_f64 v[102:103], v[0:1], -v[16:17]
	v_add_f64 v[106:107], v[4:5], v[10:11]
	v_add_f64 v[108:109], v[10:11], -v[4:5]
	v_add_f64 v[120:121], v[16:17], v[0:1]
	v_add_u32_e32 v4, 0x400, v167
	v_add_u32_e32 v24, 0x1000, v167
	;; [unrolled: 1-line block ×5, first 2 shown]
	v_add_f64 v[104:105], v[8:9], -v[6:7]
	v_add_f64 v[112:113], v[6:7], v[8:9]
	s_waitcnt lgkmcnt(0)
	; wave barrier
	s_waitcnt lgkmcnt(0)
	ds_read2_b64 v[0:3], v167 offset1:56
	ds_read2_b64 v[12:15], v4 offset0:96 offset1:152
	ds_read2_b64 v[4:7], v24 offset0:48 offset1:104
	;; [unrolled: 1-line block ×8, first 2 shown]
	v_add_u32_e32 v24, 0x2400, v167
	ds_read2_b64 v[62:65], v24 offset0:80 offset1:136
	ds_read2_b64 v[70:73], v66 offset0:192 offset1:248
	v_add_u32_e32 v24, 0x1c00, v167
	ds_read2_b64 v[66:69], v24 offset0:112 offset1:168
	ds_read_b64 v[24:25], v167 offset:10752
	s_waitcnt lgkmcnt(0)
	; wave barrier
	s_waitcnt lgkmcnt(0)
	ds_write2_b64 v29, v[86:87], v[90:91] offset1:40
	ds_write2_b64 v29, v[94:95], v[110:111] offset0:80 offset1:120
	ds_write2_b64 v29, v[114:115], v[116:117] offset0:160 offset1:200
	ds_write_b64 v29, v[118:119] offset:1920
	ds_write2_b64 v30, v[82:83], v[84:85] offset1:40
	ds_write2_b64 v30, v[88:89], v[92:93] offset0:80 offset1:120
	ds_write2_b64 v30, v[96:97], v[98:99] offset0:160 offset1:200
	ds_write_b64 v30, v[100:101] offset:1920
	;; [unrolled: 4-line block ×3, first 2 shown]
	s_and_saveexec_b64 s[2:3], vcc
	s_cbranch_execz .LBB0_43
; %bb.42:
	v_add_f64 v[30:31], v[34:35], v[80:81]
	v_add_f64 v[32:33], v[44:45], v[76:77]
	;; [unrolled: 1-line block ×3, first 2 shown]
	s_mov_b32 s4, 0x37e14327
	v_add_f64 v[44:45], v[50:51], -v[46:47]
	v_add_f64 v[46:47], v[32:33], v[30:31]
	v_add_f64 v[48:49], v[32:33], -v[30:31]
	v_add_f64 v[30:31], v[30:31], -v[34:35]
	s_mov_b32 s5, 0x3fe948f6
	v_add_f64 v[32:33], v[34:35], -v[32:33]
	v_add_f64 v[34:35], v[34:35], v[46:47]
	v_mul_f64 v[30:31], v[30:31], s[4:5]
	s_mov_b32 s4, 0x36b3c0b5
	s_mov_b32 s14, 0xaaaaaaaa
	v_add_f64 v[22:23], v[22:23], -v[74:75]
	v_add_f64 v[20:21], v[20:21], v[34:35]
	s_mov_b32 s5, 0x3fac98ee
	s_mov_b32 s12, 0xe976ee23
	;; [unrolled: 1-line block ×3, first 2 shown]
	v_add_f64 v[26:27], v[26:27], -v[78:79]
	v_add_f64 v[50:51], v[44:45], v[22:23]
	v_add_f64 v[52:53], v[44:45], -v[22:23]
	v_mul_f64 v[46:47], v[32:33], s[4:5]
	s_mov_b32 s13, 0xbfe11646
	v_fma_f64 v[34:35], s[14:15], v[34:35], v[20:21]
	s_mov_b32 s15, 0x3fe77f67
	s_mov_b32 s14, 0x5476071b
	v_add_f64 v[44:45], v[26:27], -v[44:45]
	v_add_f64 v[22:23], v[22:23], -v[26:27]
	v_add_f64 v[26:27], v[50:51], v[26:27]
	v_mul_f64 v[50:51], v[52:53], s[12:13]
	s_mov_b32 s12, 0x429ad128
	v_fma_f64 v[46:47], v[48:49], s[14:15], -v[46:47]
	s_mov_b32 s15, 0xbfe77f67
	s_mov_b32 s13, 0x3febfeb5
	v_fma_f64 v[48:49], v[48:49], s[14:15], -v[30:31]
	v_fmac_f64_e32 v[30:31], s[4:5], v[32:33]
	s_mov_b32 s5, 0x3fd5d0dc
	s_mov_b32 s4, 0xb247c609
	v_mul_f64 v[52:53], v[22:23], s[12:13]
	v_fma_f64 v[22:23], v[22:23], s[12:13], -v[50:51]
	v_fmac_f64_e32 v[50:51], s[4:5], v[44:45]
	s_mov_b32 s5, 0xbfd5d0dc
	v_fma_f64 v[32:33], v[44:45], s[4:5], -v[52:53]
	s_mov_b32 s4, 0x37c3f68c
	s_mov_b32 s5, 0x3fdc38aa
	v_add_f64 v[30:31], v[30:31], v[34:35]
	v_fmac_f64_e32 v[50:51], s[4:5], v[26:27]
	v_add_f64 v[44:45], v[46:47], v[34:35]
	v_add_f64 v[34:35], v[48:49], v[34:35]
	v_fmac_f64_e32 v[22:23], s[4:5], v[26:27]
	v_fmac_f64_e32 v[32:33], s[4:5], v[26:27]
	v_add_f64 v[26:27], v[30:31], -v[50:51]
	v_add_u32_e32 v29, 0x2000, v28
	v_add_f64 v[46:47], v[34:35], -v[32:33]
	v_add_f64 v[48:49], v[22:23], v[44:45]
	v_add_f64 v[22:23], v[44:45], -v[22:23]
	v_add_f64 v[32:33], v[32:33], v[34:35]
	ds_write2_b64 v29, v[20:21], v[26:27] offset0:96 offset1:136
	ds_write2_b64 v29, v[46:47], v[48:49] offset0:176 offset1:216
	v_add_u32_e32 v20, 0x2800, v28
	v_add_f64 v[30:31], v[50:51], v[30:31]
	ds_write2_b64 v20, v[22:23], v[32:33] offset1:40
	ds_write_b64 v28, v[30:31] offset:10880
.LBB0_43:
	s_or_b64 exec, exec, s[2:3]
	s_waitcnt lgkmcnt(0)
	; wave barrier
	s_waitcnt lgkmcnt(0)
	s_and_saveexec_b64 s[2:3], s[0:1]
	s_cbranch_execz .LBB0_45
; %bb.44:
	v_lshlrev_b32_e32 v124, 2, v171
	v_mov_b32_e32 v125, 0
	v_lshl_add_u64 v[30:31], v[124:125], 4, s[8:9]
	s_mov_b64 s[14:15], 0x1160
	v_lshl_add_u64 v[34:35], v[30:31], 0, s[14:15]
	v_add_co_u32_e32 v44, vcc, 0x1000, v30
	global_load_dwordx4 v[20:23], v[34:35], off offset:32
	global_load_dwordx4 v[26:29], v[34:35], off offset:16
	v_addc_co_u32_e32 v45, vcc, 0, v31, vcc
	global_load_dwordx4 v[30:33], v[44:45], off offset:352
	global_load_dwordx4 v[84:87], v[34:35], off offset:48
	v_mul_lo_u32 v44, s11, v150
	v_mul_lo_u32 v45, s10, v151
	v_mad_u64_u32 v[126:127], s[0:1], s10, v150, 0
	v_lshlrev_b32_e32 v124, 2, v170
	s_movk_i32 s16, 0x1000
	v_add3_u32 v127, v127, v45, v44
	v_lshl_add_u64 v[44:45], v[124:125], 4, s[8:9]
	v_lshl_add_u64 v[74:75], v[44:45], 0, s[14:15]
	v_add_co_u32_e32 v44, vcc, s16, v44
	v_add_u32_e32 v108, 0x1800, v167
	v_add_u32_e32 v50, 0x1c00, v167
	;; [unrolled: 1-line block ×3, first 2 shown]
	v_addc_co_u32_e32 v45, vcc, 0, v45, vcc
	v_add_u32_e32 v109, 0x800, v167
	ds_read_b64 v[34:35], v167 offset:10752
	ds_read2_b64 v[46:49], v108 offset0:16 offset1:72
	ds_read2_b64 v[80:83], v109 offset0:192 offset1:248
	;; [unrolled: 1-line block ×4, first 2 shown]
	global_load_dwordx4 v[88:91], v[74:75], off offset:32
	global_load_dwordx4 v[92:95], v[74:75], off offset:16
	;; [unrolled: 1-line block ×4, first 2 shown]
	s_mov_b32 s2, 0x134454ff
	s_mov_b32 s3, 0xbfee6f0e
	;; [unrolled: 1-line block ×10, first 2 shown]
	v_lshlrev_b32_e32 v124, 2, v169
	v_add_u32_e32 v144, 0x1000, v167
	s_waitcnt vmcnt(7) lgkmcnt(1)
	v_mul_f64 v[74:75], v[20:21], v[78:79]
	s_waitcnt vmcnt(6)
	v_mul_f64 v[44:45], v[26:27], v[46:47]
	v_mul_f64 v[46:47], v[28:29], v[46:47]
	;; [unrolled: 1-line block ×3, first 2 shown]
	v_fmac_f64_e32 v[44:45], v[8:9], v[28:29]
	s_waitcnt vmcnt(5)
	v_mul_f64 v[104:105], v[30:31], v[82:83]
	v_fmac_f64_e32 v[74:75], v[68:69], v[22:23]
	s_waitcnt vmcnt(4)
	v_mul_f64 v[106:107], v[84:85], v[34:35]
	v_mul_f64 v[22:23], v[32:33], v[82:83]
	;; [unrolled: 1-line block ×3, first 2 shown]
	v_fma_f64 v[68:69], v[68:69], v[20:21], -v[78:79]
	v_fmac_f64_e32 v[104:105], v[72:73], v[32:33]
	v_fmac_f64_e32 v[106:107], v[24:25], v[86:87]
	v_fma_f64 v[72:73], v[72:73], v[30:31], -v[22:23]
	v_fma_f64 v[78:79], v[24:25], v[84:85], -v[28:29]
	v_add_f64 v[22:23], v[44:45], v[74:75]
	v_fma_f64 v[8:9], v[8:9], v[26:27], -v[46:47]
	v_add_f64 v[28:29], v[72:73], -v[78:79]
	v_add_f64 v[30:31], v[104:105], v[106:107]
	s_waitcnt lgkmcnt(0)
	v_fma_f64 v[34:35], -0.5, v[22:23], v[50:51]
	v_add_f64 v[20:21], v[8:9], -v[68:69]
	v_add_f64 v[24:25], v[44:45], -v[104:105]
	;; [unrolled: 1-line block ×3, first 2 shown]
	v_fma_f64 v[30:31], -0.5, v[30:31], v[50:51]
	v_fma_f64 v[22:23], s[10:11], v[28:29], v[34:35]
	v_fmac_f64_e32 v[34:35], s[2:3], v[28:29]
	v_add_f64 v[24:25], v[24:25], v[26:27]
	v_fma_f64 v[26:27], s[2:3], v[20:21], v[30:31]
	v_fmac_f64_e32 v[30:31], s[10:11], v[20:21]
	v_fmac_f64_e32 v[22:23], s[0:1], v[20:21]
	;; [unrolled: 1-line block ×3, first 2 shown]
	v_add_f64 v[20:21], v[104:105], v[50:51]
	v_add_f64 v[20:21], v[44:45], v[20:21]
	v_add_f64 v[32:33], v[104:105], -v[44:45]
	v_add_f64 v[46:47], v[106:107], -v[74:75]
	v_fmac_f64_e32 v[26:27], s[0:1], v[28:29]
	v_fmac_f64_e32 v[30:31], s[12:13], v[28:29]
	v_add_f64 v[20:21], v[74:75], v[20:21]
	v_add_f64 v[32:33], v[32:33], v[46:47]
	v_fmac_f64_e32 v[26:27], s[4:5], v[24:25]
	v_fmac_f64_e32 v[30:31], s[4:5], v[24:25]
	v_add_f64 v[46:47], v[106:107], v[20:21]
	v_add_f64 v[20:21], v[8:9], -v[72:73]
	v_add_f64 v[24:25], v[68:69], -v[78:79]
	v_add_f64 v[20:21], v[20:21], v[24:25]
	v_add_f64 v[24:25], v[72:73], v[78:79]
	v_fma_f64 v[28:29], -0.5, v[24:25], v[12:13]
	v_add_f64 v[44:45], v[44:45], -v[74:75]
	v_fma_f64 v[24:25], s[10:11], v[44:45], v[28:29]
	v_add_f64 v[50:51], v[104:105], -v[106:107]
	v_fmac_f64_e32 v[28:29], s[2:3], v[44:45]
	v_fmac_f64_e32 v[24:25], s[12:13], v[50:51]
	;; [unrolled: 1-line block ×7, first 2 shown]
	v_add_f64 v[20:21], v[72:73], -v[8:9]
	v_add_f64 v[32:33], v[78:79], -v[68:69]
	v_add_f64 v[74:75], v[20:21], v[32:33]
	v_add_f64 v[20:21], v[8:9], v[68:69]
	v_fma_f64 v[32:33], -0.5, v[20:21], v[12:13]
	v_add_f64 v[12:13], v[12:13], v[72:73]
	v_add_f64 v[8:9], v[8:9], v[12:13]
	v_lshl_add_u64 v[12:13], v[124:125], 4, s[8:9]
	v_fma_f64 v[20:21], s[2:3], v[50:51], v[32:33]
	v_fmac_f64_e32 v[32:33], s[10:11], v[50:51]
	v_lshl_add_u64 v[50:51], v[12:13], 0, s[14:15]
	v_add_co_u32_e32 v12, vcc, s16, v12
	ds_read2_b64 v[84:87], v144 offset0:160 offset1:216
	s_nop 0
	v_addc_co_u32_e32 v13, vcc, 0, v13, vcc
	global_load_dwordx4 v[104:107], v[50:51], off offset:32
	global_load_dwordx4 v[116:119], v[50:51], off offset:16
	;; [unrolled: 1-line block ×4, first 2 shown]
	v_add_f64 v[8:9], v[8:9], v[68:69]
	v_add_u32_e32 v68, 0x2400, v167
	ds_read2_b64 v[132:135], v68 offset0:80 offset1:136
	v_fmac_f64_e32 v[20:21], s[12:13], v[44:45]
	v_fmac_f64_e32 v[32:33], s[0:1], v[44:45]
	v_add_f64 v[44:45], v[8:9], v[78:79]
	s_waitcnt vmcnt(6) lgkmcnt(1)
	v_mul_f64 v[8:9], v[92:93], v[86:87]
	s_waitcnt vmcnt(5)
	v_mul_f64 v[12:13], v[100:101], v[80:81]
	v_mul_f64 v[110:111], v[88:89], v[76:77]
	s_waitcnt vmcnt(4) lgkmcnt(0)
	v_mul_f64 v[120:121], v[96:97], v[134:135]
	ds_read2_b64 v[112:115], v167 offset0:112 offset1:168
	v_fmac_f64_e32 v[8:9], v[60:61], v[94:95]
	v_fmac_f64_e32 v[12:13], v[70:71], v[102:103]
	v_fmac_f64_e32 v[110:111], v[66:67], v[90:91]
	v_fmac_f64_e32 v[120:121], v[64:65], v[98:99]
	v_add_f64 v[68:69], v[8:9], -v[12:13]
	v_add_f64 v[72:73], v[110:111], -v[120:121]
	v_add_f64 v[68:69], v[68:69], v[72:73]
	v_mul_f64 v[72:73], v[102:103], v[80:81]
	v_fma_f64 v[80:81], v[70:71], v[100:101], -v[72:73]
	v_add_f64 v[70:71], v[12:13], v[120:121]
	v_fmac_f64_e32 v[20:21], s[4:5], v[74:75]
	v_fmac_f64_e32 v[32:33], s[4:5], v[74:75]
	s_waitcnt lgkmcnt(0)
	v_fma_f64 v[74:75], -0.5, v[70:71], v[114:115]
	v_mul_f64 v[70:71], v[94:95], v[86:87]
	v_fma_f64 v[60:61], v[60:61], v[92:93], -v[70:71]
	v_mul_f64 v[70:71], v[90:91], v[76:77]
	v_mul_f64 v[50:51], v[98:99], v[134:135]
	v_fma_f64 v[86:87], v[66:67], v[88:89], -v[70:71]
	v_fma_f64 v[50:51], v[64:65], v[96:97], -v[50:51]
	v_add_f64 v[72:73], v[60:61], -v[86:87]
	v_add_f64 v[64:65], v[80:81], -v[50:51]
	v_fma_f64 v[66:67], s[2:3], v[72:73], v[74:75]
	v_fmac_f64_e32 v[74:75], s[10:11], v[72:73]
	v_fmac_f64_e32 v[66:67], s[0:1], v[64:65]
	v_fmac_f64_e32 v[74:75], s[12:13], v[64:65]
	v_fmac_f64_e32 v[66:67], s[4:5], v[68:69]
	v_fmac_f64_e32 v[74:75], s[4:5], v[68:69]
	v_add_f64 v[68:69], v[12:13], -v[8:9]
	v_add_f64 v[70:71], v[120:121], -v[110:111]
	v_add_f64 v[68:69], v[68:69], v[70:71]
	v_add_f64 v[70:71], v[8:9], v[110:111]
	v_fma_f64 v[78:79], -0.5, v[70:71], v[114:115]
	v_fma_f64 v[70:71], s[10:11], v[64:65], v[78:79]
	v_fmac_f64_e32 v[78:79], s[2:3], v[64:65]
	v_add_f64 v[64:65], v[12:13], v[114:115]
	v_add_f64 v[64:65], v[8:9], v[64:65]
	v_fmac_f64_e32 v[70:71], s[0:1], v[72:73]
	v_fmac_f64_e32 v[78:79], s[12:13], v[72:73]
	v_add_f64 v[64:65], v[110:111], v[64:65]
	v_fmac_f64_e32 v[70:71], s[4:5], v[68:69]
	v_fmac_f64_e32 v[78:79], s[4:5], v[68:69]
	v_add_f64 v[82:83], v[120:121], v[64:65]
	v_add_f64 v[64:65], v[60:61], -v[80:81]
	v_add_f64 v[68:69], v[86:87], -v[50:51]
	v_add_f64 v[68:69], v[64:65], v[68:69]
	v_add_f64 v[64:65], v[80:81], v[50:51]
	v_fma_f64 v[72:73], -0.5, v[64:65], v[56:57]
	v_add_f64 v[8:9], v[8:9], -v[110:111]
	v_fma_f64 v[64:65], s[10:11], v[8:9], v[72:73]
	v_add_f64 v[12:13], v[12:13], -v[120:121]
	v_fmac_f64_e32 v[72:73], s[2:3], v[8:9]
	v_fmac_f64_e32 v[64:65], s[12:13], v[12:13]
	;; [unrolled: 1-line block ×5, first 2 shown]
	v_add_f64 v[68:69], v[80:81], -v[60:61]
	v_add_f64 v[76:77], v[50:51], -v[86:87]
	v_add_f64 v[88:89], v[68:69], v[76:77]
	v_add_f64 v[68:69], v[60:61], v[86:87]
	v_fma_f64 v[76:77], -0.5, v[68:69], v[56:57]
	v_fma_f64 v[68:69], s[2:3], v[12:13], v[76:77]
	v_fmac_f64_e32 v[76:77], s[10:11], v[12:13]
	ds_read2_b64 v[100:103], v109 offset0:80 offset1:136
	ds_read2_b64 v[96:99], v108 offset0:128 offset1:184
	v_fmac_f64_e32 v[68:69], s[12:13], v[8:9]
	v_fmac_f64_e32 v[76:77], s[0:1], v[8:9]
	v_add_f64 v[8:9], v[56:57], v[80:81]
	v_lshlrev_b32_e32 v124, 2, v168
	v_add_f64 v[8:9], v[60:61], v[8:9]
	v_lshl_add_u64 v[60:61], v[124:125], 4, s[8:9]
	v_add_f64 v[8:9], v[8:9], v[86:87]
	v_lshl_add_u64 v[86:87], v[60:61], 0, s[14:15]
	v_add_co_u32_e32 v60, vcc, s16, v60
	v_add_f64 v[80:81], v[8:9], v[50:51]
	s_nop 0
	v_addc_co_u32_e32 v61, vcc, 0, v61, vcc
	s_waitcnt vmcnt(2)
	v_mul_f64 v[8:9], v[116:117], v[84:85]
	s_waitcnt vmcnt(1) lgkmcnt(1)
	v_mul_f64 v[12:13], v[128:129], v[102:103]
	s_waitcnt lgkmcnt(0)
	v_mul_f64 v[56:57], v[104:105], v[98:99]
	global_load_dwordx4 v[108:111], v[86:87], off offset:32
	global_load_dwordx4 v[120:123], v[86:87], off offset:16
	global_load_dwordx4 v[140:143], v[60:61], off offset:352
	s_waitcnt vmcnt(3)
	v_mul_f64 v[60:61], v[136:137], v[132:133]
	v_fmac_f64_e32 v[8:9], v[58:59], v[118:119]
	v_fmac_f64_e32 v[12:13], v[42:43], v[130:131]
	;; [unrolled: 1-line block ×6, first 2 shown]
	v_add_f64 v[50:51], v[8:9], -v[12:13]
	v_add_f64 v[88:89], v[56:57], -v[60:61]
	v_add_f64 v[50:51], v[50:51], v[88:89]
	v_mul_f64 v[88:89], v[130:131], v[102:103]
	v_fma_f64 v[42:43], v[42:43], v[128:129], -v[88:89]
	v_mul_f64 v[88:89], v[138:139], v[132:133]
	global_load_dwordx4 v[128:131], v[86:87], off offset:48
	v_fma_f64 v[92:93], v[62:63], v[136:137], -v[88:89]
	v_add_f64 v[62:63], v[12:13], v[60:61]
	v_fma_f64 v[86:87], -0.5, v[62:63], v[112:113]
	v_mul_f64 v[62:63], v[118:119], v[84:85]
	v_fma_f64 v[102:103], v[58:59], v[116:117], -v[62:63]
	v_mul_f64 v[58:59], v[106:107], v[98:99]
	v_fma_f64 v[38:39], v[38:39], v[104:105], -v[58:59]
	v_add_f64 v[84:85], v[102:103], -v[38:39]
	v_add_f64 v[88:89], v[42:43], -v[92:93]
	v_fma_f64 v[58:59], s[2:3], v[84:85], v[86:87]
	v_fmac_f64_e32 v[86:87], s[10:11], v[84:85]
	v_fmac_f64_e32 v[58:59], s[0:1], v[88:89]
	;; [unrolled: 1-line block ×5, first 2 shown]
	v_add_f64 v[50:51], v[12:13], -v[8:9]
	v_add_f64 v[62:63], v[60:61], -v[56:57]
	v_add_f64 v[50:51], v[50:51], v[62:63]
	v_add_f64 v[62:63], v[8:9], v[56:57]
	v_fma_f64 v[90:91], -0.5, v[62:63], v[112:113]
	v_fma_f64 v[62:63], s[10:11], v[88:89], v[90:91]
	v_fmac_f64_e32 v[90:91], s[2:3], v[88:89]
	v_fmac_f64_e32 v[62:63], s[0:1], v[84:85]
	;; [unrolled: 1-line block ×5, first 2 shown]
	v_add_f64 v[50:51], v[12:13], v[112:113]
	v_add_f64 v[50:51], v[8:9], v[50:51]
	;; [unrolled: 1-line block ×4, first 2 shown]
	v_add_f64 v[50:51], v[102:103], -v[42:43]
	v_add_f64 v[84:85], v[38:39], -v[92:93]
	v_add_f64 v[50:51], v[50:51], v[84:85]
	v_add_f64 v[84:85], v[42:43], v[92:93]
	v_fma_f64 v[84:85], -0.5, v[84:85], v[54:55]
	v_add_f64 v[8:9], v[8:9], -v[56:57]
	v_fma_f64 v[56:57], s[10:11], v[8:9], v[84:85]
	v_add_f64 v[12:13], v[12:13], -v[60:61]
	v_fmac_f64_e32 v[84:85], s[2:3], v[8:9]
	v_fmac_f64_e32 v[56:57], s[12:13], v[12:13]
	;; [unrolled: 1-line block ×5, first 2 shown]
	v_add_f64 v[50:51], v[42:43], -v[102:103]
	v_add_f64 v[60:61], v[92:93], -v[38:39]
	v_add_f64 v[50:51], v[50:51], v[60:61]
	v_add_f64 v[60:61], v[102:103], v[38:39]
	v_fma_f64 v[88:89], -0.5, v[60:61], v[54:55]
	v_fma_f64 v[60:61], s[2:3], v[12:13], v[88:89]
	v_fmac_f64_e32 v[88:89], s[10:11], v[12:13]
	v_fmac_f64_e32 v[60:61], s[12:13], v[8:9]
	;; [unrolled: 1-line block ×3, first 2 shown]
	v_add_f64 v[8:9], v[54:55], v[42:43]
	v_add_f64 v[8:9], v[102:103], v[8:9]
	;; [unrolled: 1-line block ×3, first 2 shown]
	v_lshlrev_b32_e32 v124, 2, v166
	v_add_f64 v[92:93], v[8:9], v[92:93]
	v_lshl_add_u64 v[8:9], v[124:125], 4, s[8:9]
	v_lshl_add_u64 v[12:13], v[8:9], 0, s[14:15]
	v_add_co_u32_e32 v8, vcc, s16, v8
	ds_read2_b64 v[102:105], v144 offset0:48 offset1:104
	s_nop 0
	v_addc_co_u32_e32 v9, vcc, 0, v9, vcc
	global_load_dwordx4 v[112:115], v[12:13], off offset:32
	global_load_dwordx4 v[116:119], v[12:13], off offset:16
	;; [unrolled: 1-line block ×4, first 2 shown]
	v_add_u32_e32 v8, 0x2000, v167
	ds_read2_b64 v[144:147], v8 offset0:96 offset1:152
	v_fmac_f64_e32 v[60:61], s[4:5], v[50:51]
	v_fmac_f64_e32 v[88:89], s[4:5], v[50:51]
	s_waitcnt vmcnt(6) lgkmcnt(1)
	v_mul_f64 v[50:51], v[120:121], v[104:105]
	s_waitcnt vmcnt(5)
	v_mul_f64 v[54:55], v[140:141], v[100:101]
	v_mul_f64 v[12:13], v[108:109], v[96:97]
	v_fmac_f64_e32 v[50:51], v[6:7], v[122:123]
	v_fmac_f64_e32 v[54:55], v[40:41], v[142:143]
	v_fmac_f64_e32 v[12:13], v[36:37], v[110:111]
	v_add_f64 v[8:9], v[50:51], -v[54:55]
	s_movk_i32 s8, 0x2000
	s_waitcnt vmcnt(4) lgkmcnt(0)
	v_mul_f64 v[150:151], v[128:129], v[146:147]
	v_fmac_f64_e32 v[150:151], v[18:19], v[130:131]
	v_add_f64 v[38:39], v[12:13], -v[150:151]
	v_add_f64 v[38:39], v[8:9], v[38:39]
	v_mul_f64 v[8:9], v[142:143], v[100:101]
	ds_read2_b64 v[98:101], v167 offset1:56
	v_fma_f64 v[140:141], v[40:41], v[140:141], -v[8:9]
	v_mul_f64 v[8:9], v[130:131], v[146:147]
	v_fma_f64 v[18:19], v[18:19], v[128:129], -v[8:9]
	v_add_f64 v[8:9], v[54:55], v[150:151]
	s_waitcnt lgkmcnt(0)
	v_fma_f64 v[42:43], -0.5, v[8:9], v[100:101]
	v_mul_f64 v[8:9], v[122:123], v[104:105]
	v_fma_f64 v[120:121], v[6:7], v[120:121], -v[8:9]
	v_mul_f64 v[6:7], v[110:111], v[96:97]
	v_fma_f64 v[96:97], v[36:37], v[108:109], -v[6:7]
	v_add_f64 v[6:7], v[120:121], -v[96:97]
	v_add_f64 v[40:41], v[140:141], -v[18:19]
	v_fma_f64 v[8:9], s[2:3], v[6:7], v[42:43]
	v_fmac_f64_e32 v[42:43], s[10:11], v[6:7]
	v_fmac_f64_e32 v[8:9], s[0:1], v[40:41]
	;; [unrolled: 1-line block ×5, first 2 shown]
	v_add_f64 v[36:37], v[54:55], -v[50:51]
	v_add_f64 v[38:39], v[150:151], -v[12:13]
	v_add_f64 v[36:37], v[36:37], v[38:39]
	v_add_f64 v[38:39], v[50:51], v[12:13]
	v_fma_f64 v[106:107], -0.5, v[38:39], v[100:101]
	v_fma_f64 v[38:39], s[10:11], v[40:41], v[106:107]
	v_fmac_f64_e32 v[106:107], s[2:3], v[40:41]
	v_fmac_f64_e32 v[38:39], s[0:1], v[6:7]
	;; [unrolled: 1-line block ×3, first 2 shown]
	v_add_f64 v[6:7], v[54:55], v[100:101]
	v_add_f64 v[6:7], v[50:51], v[6:7]
	;; [unrolled: 1-line block ×3, first 2 shown]
	v_fmac_f64_e32 v[38:39], s[4:5], v[36:37]
	v_fmac_f64_e32 v[106:107], s[4:5], v[36:37]
	v_add_f64 v[110:111], v[150:151], v[6:7]
	v_add_f64 v[6:7], v[120:121], -v[140:141]
	v_add_f64 v[36:37], v[96:97], -v[18:19]
	v_add_f64 v[36:37], v[6:7], v[36:37]
	v_add_f64 v[6:7], v[140:141], v[18:19]
	v_fma_f64 v[40:41], -0.5, v[6:7], v[2:3]
	v_add_f64 v[12:13], v[50:51], -v[12:13]
	v_fma_f64 v[6:7], s[10:11], v[12:13], v[40:41]
	v_add_f64 v[50:51], v[54:55], -v[150:151]
	v_fmac_f64_e32 v[40:41], s[2:3], v[12:13]
	v_fmac_f64_e32 v[6:7], s[12:13], v[50:51]
	;; [unrolled: 1-line block ×5, first 2 shown]
	v_add_f64 v[36:37], v[140:141], -v[120:121]
	v_add_f64 v[54:55], v[18:19], -v[96:97]
	v_add_f64 v[54:55], v[36:37], v[54:55]
	v_add_f64 v[36:37], v[120:121], v[96:97]
	v_fma_f64 v[104:105], -0.5, v[36:37], v[2:3]
	v_add_f64 v[2:3], v[2:3], v[140:141]
	v_add_f64 v[2:3], v[120:121], v[2:3]
	;; [unrolled: 1-line block ×4, first 2 shown]
	v_fma_f64 v[36:37], s[2:3], v[50:51], v[104:105]
	v_fmac_f64_e32 v[104:105], s[10:11], v[50:51]
	v_fmac_f64_e32 v[36:37], s[12:13], v[12:13]
	;; [unrolled: 1-line block ×3, first 2 shown]
	s_waitcnt vmcnt(3)
	v_mul_f64 v[96:97], v[112:113], v[48:49]
	s_waitcnt vmcnt(2)
	v_mul_f64 v[2:3], v[116:117], v[102:103]
	;; [unrolled: 2-line block ×4, first 2 shown]
	v_fmac_f64_e32 v[2:3], v[4:5], v[118:119]
	v_fmac_f64_e32 v[18:19], v[14:15], v[134:135]
	;; [unrolled: 1-line block ×4, first 2 shown]
	v_add_f64 v[12:13], v[2:3], -v[18:19]
	v_add_f64 v[50:51], v[96:97], -v[100:101]
	v_add_f64 v[50:51], v[12:13], v[50:51]
	v_mul_f64 v[12:13], v[134:135], v[52:53]
	v_fma_f64 v[52:53], v[14:15], v[132:133], -v[12:13]
	v_mul_f64 v[12:13], v[138:139], v[144:145]
	v_fma_f64 v[120:121], v[16:17], v[136:137], -v[12:13]
	;; [unrolled: 2-line block ×3, first 2 shown]
	v_mul_f64 v[4:5], v[114:115], v[48:49]
	v_add_f64 v[12:13], v[18:19], v[100:101]
	v_fma_f64 v[112:113], v[10:11], v[112:113], -v[4:5]
	v_fma_f64 v[12:13], -0.5, v[12:13], v[98:99]
	v_add_f64 v[10:11], v[102:103], -v[112:113]
	v_add_f64 v[16:17], v[18:19], -v[2:3]
	;; [unrolled: 1-line block ×4, first 2 shown]
	v_fma_f64 v[4:5], s[2:3], v[10:11], v[12:13]
	v_fmac_f64_e32 v[12:13], s[10:11], v[10:11]
	v_add_f64 v[48:49], v[16:17], v[48:49]
	v_add_f64 v[16:17], v[2:3], v[96:97]
	v_fmac_f64_e32 v[4:5], s[0:1], v[14:15]
	v_fmac_f64_e32 v[12:13], s[12:13], v[14:15]
	v_fma_f64 v[16:17], -0.5, v[16:17], v[98:99]
	v_fmac_f64_e32 v[4:5], s[4:5], v[50:51]
	v_fmac_f64_e32 v[12:13], s[4:5], v[50:51]
	v_fma_f64 v[50:51], s[10:11], v[14:15], v[16:17]
	v_fmac_f64_e32 v[16:17], s[2:3], v[14:15]
	v_fmac_f64_e32 v[50:51], s[0:1], v[10:11]
	;; [unrolled: 1-line block ×3, first 2 shown]
	v_add_f64 v[10:11], v[18:19], v[98:99]
	v_add_f64 v[10:11], v[2:3], v[10:11]
	;; [unrolled: 1-line block ×3, first 2 shown]
	v_fmac_f64_e32 v[36:37], s[4:5], v[54:55]
	v_fmac_f64_e32 v[104:105], s[4:5], v[54:55]
	v_add_f64 v[54:55], v[100:101], v[10:11]
	v_add_f64 v[10:11], v[102:103], -v[52:53]
	v_add_f64 v[14:15], v[112:113], -v[120:121]
	v_add_f64 v[14:15], v[10:11], v[14:15]
	v_add_f64 v[10:11], v[52:53], v[120:121]
	v_fma_f64 v[10:11], -0.5, v[10:11], v[0:1]
	v_add_f64 v[96:97], v[2:3], -v[96:97]
	v_fma_f64 v[2:3], s[10:11], v[96:97], v[10:11]
	v_add_f64 v[18:19], v[18:19], -v[100:101]
	v_fmac_f64_e32 v[10:11], s[2:3], v[96:97]
	v_fmac_f64_e32 v[2:3], s[12:13], v[18:19]
	;; [unrolled: 1-line block ×7, first 2 shown]
	v_add_f64 v[14:15], v[52:53], -v[102:103]
	v_add_f64 v[48:49], v[120:121], -v[112:113]
	v_add_f64 v[98:99], v[14:15], v[48:49]
	v_add_f64 v[14:15], v[102:103], v[112:113]
	v_fma_f64 v[14:15], -0.5, v[14:15], v[0:1]
	v_add_f64 v[0:1], v[0:1], v[52:53]
	v_add_f64 v[0:1], v[102:103], v[0:1]
	v_fma_f64 v[48:49], s[2:3], v[18:19], v[14:15]
	v_fmac_f64_e32 v[14:15], s[10:11], v[18:19]
	v_add_f64 v[0:1], v[0:1], v[112:113]
	v_fmac_f64_e32 v[14:15], s[0:1], v[96:97]
	v_add_f64 v[52:53], v[0:1], v[120:121]
	v_lshrrev_b32_e32 v0, 3, v166
	s_mov_b32 s0, 0xea0ea0f
	v_mul_hi_u32 v0, v0, s0
	v_lshrrev_b32_e32 v0, 1, v0
	v_mul_u32_u24_e32 v0, 0x118, v0
	v_sub_u32_e32 v18, v166, v0
	v_lshl_add_u64 v[0:1], v[126:127], 4, s[6:7]
	v_lshl_add_u64 v[0:1], v[148:149], 4, v[0:1]
	v_lshlrev_b32_e32 v124, 4, v18
	v_lshl_add_u64 v[18:19], v[0:1], 0, v[124:125]
	global_store_dwordx4 v[18:19], v[52:55], off
	v_fmac_f64_e32 v[14:15], s[4:5], v[98:99]
	s_movk_i32 s1, 0x3000
	v_add_co_u32_e32 v52, vcc, s16, v18
	v_fmac_f64_e32 v[48:49], s[12:13], v[96:97]
	s_nop 0
	v_addc_co_u32_e32 v53, vcc, 0, v19, vcc
	global_store_dwordx4 v[52:53], v[14:17], off offset:384
	v_fmac_f64_e32 v[48:49], s[4:5], v[98:99]
	s_nop 0
	v_add_co_u32_e32 v14, vcc, s8, v18
	s_nop 1
	v_addc_co_u32_e32 v15, vcc, 0, v19, vcc
	global_store_dwordx4 v[14:15], v[10:13], off offset:768
	s_nop 1
	v_add_co_u32_e32 v10, vcc, s1, v18
	s_movk_i32 s1, 0x4000
	s_nop 0
	v_addc_co_u32_e32 v11, vcc, 0, v19, vcc
	global_store_dwordx4 v[10:11], v[2:5], off offset:1152
	s_nop 1
	v_add_co_u32_e32 v2, vcc, s1, v18
	s_movk_i32 s1, 0x578
	s_nop 0
	v_addc_co_u32_e32 v3, vcc, 0, v19, vcc
	global_store_dwordx4 v[2:3], v[48:51], off offset:1536
	v_add_u32_e32 v2, 56, v166
	v_lshrrev_b32_e32 v3, 3, v2
	v_mul_hi_u32 v3, v3, s0
	v_lshrrev_b32_e32 v3, 1, v3
	v_mul_u32_u24_e32 v4, 0x118, v3
	v_sub_u32_e32 v2, v2, v4
	v_mad_u32_u24 v124, v3, s1, v2
	v_lshl_add_u64 v[2:3], v[124:125], 4, v[0:1]
	global_store_dwordx4 v[2:3], v[108:111], off
	v_add_u32_e32 v2, 0x118, v124
	v_mov_b32_e32 v3, v125
	v_lshl_add_u64 v[2:3], v[2:3], 4, v[0:1]
	global_store_dwordx4 v[2:3], v[104:107], off
	v_add_u32_e32 v2, 0x230, v124
	v_mov_b32_e32 v3, v125
	v_lshl_add_u64 v[2:3], v[2:3], 4, v[0:1]
	global_store_dwordx4 v[2:3], v[40:43], off
	v_add_u32_e32 v2, 0x348, v124
	v_mov_b32_e32 v3, v125
	v_lshl_add_u64 v[2:3], v[2:3], 4, v[0:1]
	v_add_u32_e32 v124, 0x460, v124
	global_store_dwordx4 v[2:3], v[6:9], off
	v_lshl_add_u64 v[2:3], v[124:125], 4, v[0:1]
	global_store_dwordx4 v[2:3], v[36:39], off
	v_add_u32_e32 v2, 0x70, v166
	v_lshrrev_b32_e32 v3, 3, v2
	v_mul_hi_u32 v3, v3, s0
	v_lshrrev_b32_e32 v3, 1, v3
	v_mul_u32_u24_e32 v4, 0x118, v3
	v_sub_u32_e32 v2, v2, v4
	v_mad_u32_u24 v124, v3, s1, v2
	v_lshl_add_u64 v[2:3], v[124:125], 4, v[0:1]
	global_store_dwordx4 v[2:3], v[92:95], off
	v_add_u32_e32 v2, 0x118, v124
	v_mov_b32_e32 v3, v125
	v_lshl_add_u64 v[2:3], v[2:3], 4, v[0:1]
	global_store_dwordx4 v[2:3], v[88:91], off
	v_add_u32_e32 v2, 0x230, v124
	v_mov_b32_e32 v3, v125
	v_lshl_add_u64 v[2:3], v[2:3], 4, v[0:1]
	global_store_dwordx4 v[2:3], v[84:87], off
	v_add_u32_e32 v2, 0x348, v124
	v_mov_b32_e32 v3, v125
	v_lshl_add_u64 v[2:3], v[2:3], 4, v[0:1]
	v_add_u32_e32 v124, 0x460, v124
	global_store_dwordx4 v[2:3], v[56:59], off
	v_lshl_add_u64 v[2:3], v[124:125], 4, v[0:1]
	global_store_dwordx4 v[2:3], v[60:63], off
	;; [unrolled: 24-line block ×3, first 2 shown]
	v_add_u32_e32 v2, 0xe0, v166
	v_lshrrev_b32_e32 v3, 3, v2
	v_mul_hi_u32 v3, v3, s0
	v_lshrrev_b32_e32 v3, 1, v3
	v_mul_u32_u24_e32 v4, 0x118, v3
	v_sub_u32_e32 v2, v2, v4
	v_mad_u32_u24 v124, v3, s1, v2
	v_lshl_add_u64 v[2:3], v[124:125], 4, v[0:1]
	global_store_dwordx4 v[2:3], v[44:47], off
	v_add_u32_e32 v2, 0x118, v124
	v_mov_b32_e32 v3, v125
	v_lshl_add_u64 v[2:3], v[2:3], 4, v[0:1]
	global_store_dwordx4 v[2:3], v[32:35], off
	v_add_u32_e32 v2, 0x230, v124
	v_mov_b32_e32 v3, v125
	;; [unrolled: 4-line block ×3, first 2 shown]
	v_add_u32_e32 v124, 0x460, v124
	v_lshl_add_u64 v[2:3], v[2:3], 4, v[0:1]
	v_lshl_add_u64 v[0:1], v[124:125], 4, v[0:1]
	global_store_dwordx4 v[2:3], v[24:27], off
	global_store_dwordx4 v[0:1], v[20:23], off
.LBB0_45:
	s_endpgm
	.section	.rodata,"a",@progbits
	.p2align	6, 0x0
	.amdhsa_kernel fft_rtc_fwd_len1400_factors_2_2_2_5_7_5_wgs_56_tpt_56_halfLds_dp_op_CI_CI_unitstride_sbrr_dirReg
		.amdhsa_group_segment_fixed_size 0
		.amdhsa_private_segment_fixed_size 0
		.amdhsa_kernarg_size 104
		.amdhsa_user_sgpr_count 2
		.amdhsa_user_sgpr_dispatch_ptr 0
		.amdhsa_user_sgpr_queue_ptr 0
		.amdhsa_user_sgpr_kernarg_segment_ptr 1
		.amdhsa_user_sgpr_dispatch_id 0
		.amdhsa_user_sgpr_kernarg_preload_length 0
		.amdhsa_user_sgpr_kernarg_preload_offset 0
		.amdhsa_user_sgpr_private_segment_size 0
		.amdhsa_uses_dynamic_stack 0
		.amdhsa_enable_private_segment 0
		.amdhsa_system_sgpr_workgroup_id_x 1
		.amdhsa_system_sgpr_workgroup_id_y 0
		.amdhsa_system_sgpr_workgroup_id_z 0
		.amdhsa_system_sgpr_workgroup_info 0
		.amdhsa_system_vgpr_workitem_id 0
		.amdhsa_next_free_vgpr 238
		.amdhsa_next_free_sgpr 30
		.amdhsa_accum_offset 240
		.amdhsa_reserve_vcc 1
		.amdhsa_float_round_mode_32 0
		.amdhsa_float_round_mode_16_64 0
		.amdhsa_float_denorm_mode_32 3
		.amdhsa_float_denorm_mode_16_64 3
		.amdhsa_dx10_clamp 1
		.amdhsa_ieee_mode 1
		.amdhsa_fp16_overflow 0
		.amdhsa_tg_split 0
		.amdhsa_exception_fp_ieee_invalid_op 0
		.amdhsa_exception_fp_denorm_src 0
		.amdhsa_exception_fp_ieee_div_zero 0
		.amdhsa_exception_fp_ieee_overflow 0
		.amdhsa_exception_fp_ieee_underflow 0
		.amdhsa_exception_fp_ieee_inexact 0
		.amdhsa_exception_int_div_zero 0
	.end_amdhsa_kernel
	.text
.Lfunc_end0:
	.size	fft_rtc_fwd_len1400_factors_2_2_2_5_7_5_wgs_56_tpt_56_halfLds_dp_op_CI_CI_unitstride_sbrr_dirReg, .Lfunc_end0-fft_rtc_fwd_len1400_factors_2_2_2_5_7_5_wgs_56_tpt_56_halfLds_dp_op_CI_CI_unitstride_sbrr_dirReg
                                        ; -- End function
	.section	.AMDGPU.csdata,"",@progbits
; Kernel info:
; codeLenInByte = 17912
; NumSgprs: 36
; NumVgprs: 238
; NumAgprs: 0
; TotalNumVgprs: 238
; ScratchSize: 0
; MemoryBound: 1
; FloatMode: 240
; IeeeMode: 1
; LDSByteSize: 0 bytes/workgroup (compile time only)
; SGPRBlocks: 4
; VGPRBlocks: 29
; NumSGPRsForWavesPerEU: 36
; NumVGPRsForWavesPerEU: 238
; AccumOffset: 240
; Occupancy: 2
; WaveLimiterHint : 1
; COMPUTE_PGM_RSRC2:SCRATCH_EN: 0
; COMPUTE_PGM_RSRC2:USER_SGPR: 2
; COMPUTE_PGM_RSRC2:TRAP_HANDLER: 0
; COMPUTE_PGM_RSRC2:TGID_X_EN: 1
; COMPUTE_PGM_RSRC2:TGID_Y_EN: 0
; COMPUTE_PGM_RSRC2:TGID_Z_EN: 0
; COMPUTE_PGM_RSRC2:TIDIG_COMP_CNT: 0
; COMPUTE_PGM_RSRC3_GFX90A:ACCUM_OFFSET: 59
; COMPUTE_PGM_RSRC3_GFX90A:TG_SPLIT: 0
	.text
	.p2alignl 6, 3212836864
	.fill 256, 4, 3212836864
	.type	__hip_cuid_938a587ba57cbaa0,@object ; @__hip_cuid_938a587ba57cbaa0
	.section	.bss,"aw",@nobits
	.globl	__hip_cuid_938a587ba57cbaa0
__hip_cuid_938a587ba57cbaa0:
	.byte	0                               ; 0x0
	.size	__hip_cuid_938a587ba57cbaa0, 1

	.ident	"AMD clang version 19.0.0git (https://github.com/RadeonOpenCompute/llvm-project roc-6.4.0 25133 c7fe45cf4b819c5991fe208aaa96edf142730f1d)"
	.section	".note.GNU-stack","",@progbits
	.addrsig
	.addrsig_sym __hip_cuid_938a587ba57cbaa0
	.amdgpu_metadata
---
amdhsa.kernels:
  - .agpr_count:     0
    .args:
      - .actual_access:  read_only
        .address_space:  global
        .offset:         0
        .size:           8
        .value_kind:     global_buffer
      - .offset:         8
        .size:           8
        .value_kind:     by_value
      - .actual_access:  read_only
        .address_space:  global
        .offset:         16
        .size:           8
        .value_kind:     global_buffer
      - .actual_access:  read_only
        .address_space:  global
        .offset:         24
        .size:           8
        .value_kind:     global_buffer
      - .actual_access:  read_only
        .address_space:  global
        .offset:         32
        .size:           8
        .value_kind:     global_buffer
      - .offset:         40
        .size:           8
        .value_kind:     by_value
      - .actual_access:  read_only
        .address_space:  global
        .offset:         48
        .size:           8
        .value_kind:     global_buffer
      - .actual_access:  read_only
        .address_space:  global
        .offset:         56
        .size:           8
        .value_kind:     global_buffer
      - .offset:         64
        .size:           4
        .value_kind:     by_value
      - .actual_access:  read_only
        .address_space:  global
        .offset:         72
        .size:           8
        .value_kind:     global_buffer
      - .actual_access:  read_only
        .address_space:  global
        .offset:         80
        .size:           8
        .value_kind:     global_buffer
      - .actual_access:  read_only
        .address_space:  global
        .offset:         88
        .size:           8
        .value_kind:     global_buffer
      - .actual_access:  write_only
        .address_space:  global
        .offset:         96
        .size:           8
        .value_kind:     global_buffer
    .group_segment_fixed_size: 0
    .kernarg_segment_align: 8
    .kernarg_segment_size: 104
    .language:       OpenCL C
    .language_version:
      - 2
      - 0
    .max_flat_workgroup_size: 56
    .name:           fft_rtc_fwd_len1400_factors_2_2_2_5_7_5_wgs_56_tpt_56_halfLds_dp_op_CI_CI_unitstride_sbrr_dirReg
    .private_segment_fixed_size: 0
    .sgpr_count:     36
    .sgpr_spill_count: 0
    .symbol:         fft_rtc_fwd_len1400_factors_2_2_2_5_7_5_wgs_56_tpt_56_halfLds_dp_op_CI_CI_unitstride_sbrr_dirReg.kd
    .uniform_work_group_size: 1
    .uses_dynamic_stack: false
    .vgpr_count:     238
    .vgpr_spill_count: 0
    .wavefront_size: 64
amdhsa.target:   amdgcn-amd-amdhsa--gfx950
amdhsa.version:
  - 1
  - 2
...

	.end_amdgpu_metadata
